;; amdgpu-corpus repo=zjin-lcf/HeCBench kind=compiled arch=gfx906 opt=O3
	.amdgcn_target "amdgcn-amd-amdhsa--gfx906"
	.amdhsa_code_object_version 6
	.section	.text._Z4fillILb1EfEviPT0_S0_,"axG",@progbits,_Z4fillILb1EfEviPT0_S0_,comdat
	.protected	_Z4fillILb1EfEviPT0_S0_ ; -- Begin function _Z4fillILb1EfEviPT0_S0_
	.globl	_Z4fillILb1EfEviPT0_S0_
	.p2align	8
	.type	_Z4fillILb1EfEviPT0_S0_,@function
_Z4fillILb1EfEviPT0_S0_:                ; @_Z4fillILb1EfEviPT0_S0_
; %bb.0:
	s_load_dword s2, s[4:5], 0x24
	s_load_dword s7, s[4:5], 0x0
	s_add_u32 s0, s4, 24
	s_addc_u32 s1, s5, 0
	s_waitcnt lgkmcnt(0)
	s_and_b32 s8, s2, 0xffff
	s_mul_i32 s6, s6, s8
	v_add_u32_e32 v0, s6, v0
	v_cmp_gt_i32_e32 vcc, s7, v0
	s_and_saveexec_b64 s[2:3], vcc
	s_cbranch_execz .LBB0_3
; %bb.1:
	s_load_dword s6, s[0:1], 0x0
	s_load_dwordx2 s[2:3], s[4:5], 0x8
	v_cvt_f32_i32_e32 v2, s7
	s_mov_b64 s[4:5], 0
	s_waitcnt lgkmcnt(0)
	s_mul_i32 s6, s6, s8
	v_mov_b32_e32 v3, s3
.LBB0_2:                                ; =>This Inner Loop Header: Depth=1
	v_add_u32_e32 v1, 1, v0
	v_cvt_f32_i32_e32 v6, v1
	v_div_scale_f32 v1, s[0:1], v2, v2, v6
	v_div_scale_f32 v4, vcc, v6, v2, v6
	v_rcp_f32_e32 v5, v1
	v_fma_f32 v7, -v1, v5, 1.0
	v_fmac_f32_e32 v5, v7, v5
	v_mul_f32_e32 v7, v4, v5
	v_fma_f32 v8, -v1, v7, v4
	v_fmac_f32_e32 v7, v8, v5
	v_fma_f32 v1, -v1, v7, v4
	v_div_fmas_f32 v7, v1, v5, v7
	v_ashrrev_i32_e32 v1, 31, v0
	v_lshlrev_b64 v[4:5], 2, v[0:1]
	v_add_u32_e32 v0, s6, v0
	v_cmp_le_i32_e32 vcc, s7, v0
	v_add_co_u32_e64 v4, s[0:1], s2, v4
	v_addc_co_u32_e64 v5, s[0:1], v3, v5, s[0:1]
	s_or_b64 s[4:5], vcc, s[4:5]
	v_div_fixup_f32 v1, v7, v2, v6
	global_store_dword v[4:5], v1, off
	s_andn2_b64 exec, exec, s[4:5]
	s_cbranch_execnz .LBB0_2
.LBB0_3:
	s_endpgm
	.section	.rodata,"a",@progbits
	.p2align	6, 0x0
	.amdhsa_kernel _Z4fillILb1EfEviPT0_S0_
		.amdhsa_group_segment_fixed_size 0
		.amdhsa_private_segment_fixed_size 0
		.amdhsa_kernarg_size 280
		.amdhsa_user_sgpr_count 6
		.amdhsa_user_sgpr_private_segment_buffer 1
		.amdhsa_user_sgpr_dispatch_ptr 0
		.amdhsa_user_sgpr_queue_ptr 0
		.amdhsa_user_sgpr_kernarg_segment_ptr 1
		.amdhsa_user_sgpr_dispatch_id 0
		.amdhsa_user_sgpr_flat_scratch_init 0
		.amdhsa_user_sgpr_private_segment_size 0
		.amdhsa_uses_dynamic_stack 0
		.amdhsa_system_sgpr_private_segment_wavefront_offset 0
		.amdhsa_system_sgpr_workgroup_id_x 1
		.amdhsa_system_sgpr_workgroup_id_y 0
		.amdhsa_system_sgpr_workgroup_id_z 0
		.amdhsa_system_sgpr_workgroup_info 0
		.amdhsa_system_vgpr_workitem_id 0
		.amdhsa_next_free_vgpr 9
		.amdhsa_next_free_sgpr 9
		.amdhsa_reserve_vcc 1
		.amdhsa_reserve_flat_scratch 0
		.amdhsa_float_round_mode_32 0
		.amdhsa_float_round_mode_16_64 0
		.amdhsa_float_denorm_mode_32 3
		.amdhsa_float_denorm_mode_16_64 3
		.amdhsa_dx10_clamp 1
		.amdhsa_ieee_mode 1
		.amdhsa_fp16_overflow 0
		.amdhsa_exception_fp_ieee_invalid_op 0
		.amdhsa_exception_fp_denorm_src 0
		.amdhsa_exception_fp_ieee_div_zero 0
		.amdhsa_exception_fp_ieee_overflow 0
		.amdhsa_exception_fp_ieee_underflow 0
		.amdhsa_exception_fp_ieee_inexact 0
		.amdhsa_exception_int_div_zero 0
	.end_amdhsa_kernel
	.section	.text._Z4fillILb1EfEviPT0_S0_,"axG",@progbits,_Z4fillILb1EfEviPT0_S0_,comdat
.Lfunc_end0:
	.size	_Z4fillILb1EfEviPT0_S0_, .Lfunc_end0-_Z4fillILb1EfEviPT0_S0_
                                        ; -- End function
	.set _Z4fillILb1EfEviPT0_S0_.num_vgpr, 9
	.set _Z4fillILb1EfEviPT0_S0_.num_agpr, 0
	.set _Z4fillILb1EfEviPT0_S0_.numbered_sgpr, 9
	.set _Z4fillILb1EfEviPT0_S0_.num_named_barrier, 0
	.set _Z4fillILb1EfEviPT0_S0_.private_seg_size, 0
	.set _Z4fillILb1EfEviPT0_S0_.uses_vcc, 1
	.set _Z4fillILb1EfEviPT0_S0_.uses_flat_scratch, 0
	.set _Z4fillILb1EfEviPT0_S0_.has_dyn_sized_stack, 0
	.set _Z4fillILb1EfEviPT0_S0_.has_recursion, 0
	.set _Z4fillILb1EfEviPT0_S0_.has_indirect_call, 0
	.section	.AMDGPU.csdata,"",@progbits
; Kernel info:
; codeLenInByte = 232
; TotalNumSgprs: 13
; NumVgprs: 9
; ScratchSize: 0
; MemoryBound: 0
; FloatMode: 240
; IeeeMode: 1
; LDSByteSize: 0 bytes/workgroup (compile time only)
; SGPRBlocks: 1
; VGPRBlocks: 2
; NumSGPRsForWavesPerEU: 13
; NumVGPRsForWavesPerEU: 9
; Occupancy: 10
; WaveLimiterHint : 0
; COMPUTE_PGM_RSRC2:SCRATCH_EN: 0
; COMPUTE_PGM_RSRC2:USER_SGPR: 6
; COMPUTE_PGM_RSRC2:TRAP_HANDLER: 0
; COMPUTE_PGM_RSRC2:TGID_X_EN: 1
; COMPUTE_PGM_RSRC2:TGID_Y_EN: 0
; COMPUTE_PGM_RSRC2:TGID_Z_EN: 0
; COMPUTE_PGM_RSRC2:TIDIG_COMP_CNT: 0
	.section	.text._Z4fillILb0EfEviPT0_S0_,"axG",@progbits,_Z4fillILb0EfEviPT0_S0_,comdat
	.protected	_Z4fillILb0EfEviPT0_S0_ ; -- Begin function _Z4fillILb0EfEviPT0_S0_
	.globl	_Z4fillILb0EfEviPT0_S0_
	.p2align	8
	.type	_Z4fillILb0EfEviPT0_S0_,@function
_Z4fillILb0EfEviPT0_S0_:                ; @_Z4fillILb0EfEviPT0_S0_
; %bb.0:
	s_load_dword s0, s[4:5], 0x24
	s_load_dword s7, s[4:5], 0x0
	s_add_u32 s2, s4, 24
	s_addc_u32 s3, s5, 0
	s_waitcnt lgkmcnt(0)
	s_and_b32 s8, s0, 0xffff
	s_mul_i32 s6, s6, s8
	v_add_u32_e32 v0, s6, v0
	v_cmp_gt_i32_e32 vcc, s7, v0
	s_and_saveexec_b64 s[0:1], vcc
	s_cbranch_execz .LBB1_3
; %bb.1:
	s_load_dword s6, s[2:3], 0x0
	s_load_dwordx2 s[0:1], s[4:5], 0x8
	s_load_dword s9, s[4:5], 0x10
	s_mov_b64 s[2:3], 0
	s_waitcnt lgkmcnt(0)
	s_mul_i32 s4, s6, s8
	v_mov_b32_e32 v2, s1
	v_mov_b32_e32 v3, s9
.LBB1_2:                                ; =>This Inner Loop Header: Depth=1
	v_ashrrev_i32_e32 v1, 31, v0
	v_lshlrev_b64 v[4:5], 2, v[0:1]
	v_add_u32_e32 v0, s4, v0
	v_add_co_u32_e32 v4, vcc, s0, v4
	v_addc_co_u32_e32 v5, vcc, v2, v5, vcc
	v_cmp_le_i32_e32 vcc, s7, v0
	s_or_b64 s[2:3], vcc, s[2:3]
	global_store_dword v[4:5], v3, off
	s_andn2_b64 exec, exec, s[2:3]
	s_cbranch_execnz .LBB1_2
.LBB1_3:
	s_endpgm
	.section	.rodata,"a",@progbits
	.p2align	6, 0x0
	.amdhsa_kernel _Z4fillILb0EfEviPT0_S0_
		.amdhsa_group_segment_fixed_size 0
		.amdhsa_private_segment_fixed_size 0
		.amdhsa_kernarg_size 280
		.amdhsa_user_sgpr_count 6
		.amdhsa_user_sgpr_private_segment_buffer 1
		.amdhsa_user_sgpr_dispatch_ptr 0
		.amdhsa_user_sgpr_queue_ptr 0
		.amdhsa_user_sgpr_kernarg_segment_ptr 1
		.amdhsa_user_sgpr_dispatch_id 0
		.amdhsa_user_sgpr_flat_scratch_init 0
		.amdhsa_user_sgpr_private_segment_size 0
		.amdhsa_uses_dynamic_stack 0
		.amdhsa_system_sgpr_private_segment_wavefront_offset 0
		.amdhsa_system_sgpr_workgroup_id_x 1
		.amdhsa_system_sgpr_workgroup_id_y 0
		.amdhsa_system_sgpr_workgroup_id_z 0
		.amdhsa_system_sgpr_workgroup_info 0
		.amdhsa_system_vgpr_workitem_id 0
		.amdhsa_next_free_vgpr 6
		.amdhsa_next_free_sgpr 10
		.amdhsa_reserve_vcc 1
		.amdhsa_reserve_flat_scratch 0
		.amdhsa_float_round_mode_32 0
		.amdhsa_float_round_mode_16_64 0
		.amdhsa_float_denorm_mode_32 3
		.amdhsa_float_denorm_mode_16_64 3
		.amdhsa_dx10_clamp 1
		.amdhsa_ieee_mode 1
		.amdhsa_fp16_overflow 0
		.amdhsa_exception_fp_ieee_invalid_op 0
		.amdhsa_exception_fp_denorm_src 0
		.amdhsa_exception_fp_ieee_div_zero 0
		.amdhsa_exception_fp_ieee_overflow 0
		.amdhsa_exception_fp_ieee_underflow 0
		.amdhsa_exception_fp_ieee_inexact 0
		.amdhsa_exception_int_div_zero 0
	.end_amdhsa_kernel
	.section	.text._Z4fillILb0EfEviPT0_S0_,"axG",@progbits,_Z4fillILb0EfEviPT0_S0_,comdat
.Lfunc_end1:
	.size	_Z4fillILb0EfEviPT0_S0_, .Lfunc_end1-_Z4fillILb0EfEviPT0_S0_
                                        ; -- End function
	.set _Z4fillILb0EfEviPT0_S0_.num_vgpr, 6
	.set _Z4fillILb0EfEviPT0_S0_.num_agpr, 0
	.set _Z4fillILb0EfEviPT0_S0_.numbered_sgpr, 10
	.set _Z4fillILb0EfEviPT0_S0_.num_named_barrier, 0
	.set _Z4fillILb0EfEviPT0_S0_.private_seg_size, 0
	.set _Z4fillILb0EfEviPT0_S0_.uses_vcc, 1
	.set _Z4fillILb0EfEviPT0_S0_.uses_flat_scratch, 0
	.set _Z4fillILb0EfEviPT0_S0_.has_dyn_sized_stack, 0
	.set _Z4fillILb0EfEviPT0_S0_.has_recursion, 0
	.set _Z4fillILb0EfEviPT0_S0_.has_indirect_call, 0
	.section	.AMDGPU.csdata,"",@progbits
; Kernel info:
; codeLenInByte = 152
; TotalNumSgprs: 14
; NumVgprs: 6
; ScratchSize: 0
; MemoryBound: 0
; FloatMode: 240
; IeeeMode: 1
; LDSByteSize: 0 bytes/workgroup (compile time only)
; SGPRBlocks: 1
; VGPRBlocks: 1
; NumSGPRsForWavesPerEU: 14
; NumVGPRsForWavesPerEU: 6
; Occupancy: 10
; WaveLimiterHint : 0
; COMPUTE_PGM_RSRC2:SCRATCH_EN: 0
; COMPUTE_PGM_RSRC2:USER_SGPR: 6
; COMPUTE_PGM_RSRC2:TRAP_HANDLER: 0
; COMPUTE_PGM_RSRC2:TGID_X_EN: 1
; COMPUTE_PGM_RSRC2:TGID_Y_EN: 0
; COMPUTE_PGM_RSRC2:TGID_Z_EN: 0
; COMPUTE_PGM_RSRC2:TIDIG_COMP_CNT: 0
	.section	.text._Z15jaccard_row_sumILb1EfEviPKiS1_PKT0_PS2_,"axG",@progbits,_Z15jaccard_row_sumILb1EfEviPKiS1_PKT0_PS2_,comdat
	.protected	_Z15jaccard_row_sumILb1EfEviPKiS1_PKT0_PS2_ ; -- Begin function _Z15jaccard_row_sumILb1EfEviPKiS1_PKT0_PS2_
	.globl	_Z15jaccard_row_sumILb1EfEviPKiS1_PKT0_PS2_
	.p2align	8
	.type	_Z15jaccard_row_sumILb1EfEviPKiS1_PKT0_PS2_,@function
_Z15jaccard_row_sumILb1EfEviPKiS1_PKT0_PS2_: ; @_Z15jaccard_row_sumILb1EfEviPKiS1_PKT0_PS2_
; %bb.0:
	s_load_dword s2, s[4:5], 0x34
	s_load_dword s20, s[4:5], 0x0
	s_add_u32 s0, s4, 40
	s_addc_u32 s1, s5, 0
	s_waitcnt lgkmcnt(0)
	s_lshr_b32 s6, s2, 16
	s_mul_i32 s7, s7, s6
	v_add_u32_e32 v1, s7, v1
	v_cmp_gt_i32_e32 vcc, s20, v1
	s_and_saveexec_b64 s[2:3], vcc
	s_cbranch_execz .LBB2_14
; %bb.1:
	s_load_dword s2, s[0:1], 0xc
	s_load_dword s22, s[0:1], 0x4
	s_load_dwordx8 s[8:15], s[4:5], 0x8
	v_mbcnt_lo_u32_b32 v3, -1, 0
	v_mbcnt_hi_u32_b32 v6, -1, v3
	s_waitcnt lgkmcnt(0)
	s_and_b32 s21, s2, 0xffff
	v_cvt_f32_u32_e32 v2, s21
	s_sub_i32 s4, 0, s21
	s_add_i32 s23, s21, -1
	v_and_b32_e32 v7, s4, v6
	v_rcp_iflag_f32_e32 v2, v2
	s_cmp_gt_u32 s21, 1
	v_cmp_eq_u32_e64 s[0:1], 0, v0
	s_mov_b64 s[2:3], 0
	v_mul_f32_e32 v2, 0x4f7ffffe, v2
	v_cvt_u32_f32_e32 v2, v2
	s_mul_i32 s22, s22, s6
	v_add_lshl_u32 v8, s23, v7, 2
	v_mov_b32_e32 v10, s9
	v_mul_lo_u32 v3, s4, v2
	s_cselect_b64 s[4:5], -1, 0
	v_mul_hi_u32 v3, v2, v3
	v_add_u32_e32 v9, v2, v3
	s_branch .LBB2_3
.LBB2_2:                                ;   in Loop: Header=BB2_3 Depth=1
	s_or_b64 exec, exec, s[6:7]
	v_add_u32_e32 v1, s22, v1
	v_cmp_le_i32_e32 vcc, s20, v1
	s_or_b64 s[2:3], vcc, s[2:3]
	s_andn2_b64 exec, exec, s[2:3]
	s_cbranch_execz .LBB2_14
.LBB2_3:                                ; =>This Loop Header: Depth=1
                                        ;     Child Loop BB2_6 Depth 2
                                        ;       Child Loop BB2_10 Depth 3
	v_ashrrev_i32_e32 v2, 31, v1
	v_lshlrev_b64 v[2:3], 2, v[1:2]
	s_waitcnt lgkmcnt(0)
	v_add_co_u32_e32 v4, vcc, s8, v2
	v_addc_co_u32_e32 v5, vcc, v10, v3, vcc
	global_load_dwordx2 v[4:5], v[4:5], off
	s_waitcnt vmcnt(0)
	v_sub_u32_e32 v11, v5, v4
	v_add_u32_e32 v5, s23, v11
	v_mul_hi_u32 v12, v5, v9
	v_mul_lo_u32 v12, v12, s21
	v_sub_u32_e32 v12, v5, v12
	v_subrev_u32_e32 v13, s21, v12
	v_cmp_le_u32_e32 vcc, s21, v12
	v_cndmask_b32_e32 v12, v12, v13, vcc
	v_subrev_u32_e32 v13, s21, v12
	v_cmp_le_u32_e32 vcc, s21, v12
	v_cndmask_b32_e32 v12, v12, v13, vcc
	v_sub_u32_e32 v12, v5, v12
	v_cmp_lt_i32_e32 vcc, v0, v12
	v_mov_b32_e32 v5, 0
	s_and_saveexec_b64 s[6:7], vcc
	s_cbranch_execz .LBB2_12
; %bb.4:                                ;   in Loop: Header=BB2_3 Depth=1
	v_ashrrev_i32_e32 v5, 31, v4
	v_lshlrev_b64 v[4:5], 2, v[4:5]
	v_mov_b32_e32 v14, s11
	v_add_co_u32_e32 v13, vcc, s10, v4
	v_addc_co_u32_e32 v14, vcc, v14, v5, vcc
	v_mov_b32_e32 v5, 0
	s_mov_b64 s[16:17], 0
	v_mov_b32_e32 v4, v0
	s_branch .LBB2_6
.LBB2_5:                                ;   in Loop: Header=BB2_6 Depth=2
	v_add_u32_e32 v4, s21, v4
	v_cmp_ge_i32_e32 vcc, v4, v12
	s_or_b64 s[16:17], vcc, s[16:17]
	s_waitcnt vmcnt(0) lgkmcnt(0)
	v_add_f32_e32 v5, v5, v15
	s_andn2_b64 exec, exec, s[16:17]
	s_cbranch_execz .LBB2_11
.LBB2_6:                                ;   Parent Loop BB2_3 Depth=1
                                        ; =>  This Loop Header: Depth=2
                                        ;       Child Loop BB2_10 Depth 3
	ds_bpermute_b32 v15, v8, v5
	v_cmp_lt_i32_e32 vcc, v4, v11
	v_mov_b32_e32 v5, 0
	s_and_saveexec_b64 s[18:19], vcc
	s_cbranch_execz .LBB2_8
; %bb.7:                                ;   in Loop: Header=BB2_6 Depth=2
	v_ashrrev_i32_e32 v5, 31, v4
	v_lshlrev_b64 v[16:17], 2, v[4:5]
	v_mov_b32_e32 v5, s13
	v_add_co_u32_e32 v16, vcc, v13, v16
	v_addc_co_u32_e32 v17, vcc, v14, v17, vcc
	global_load_dword v16, v[16:17], off
	s_waitcnt vmcnt(0)
	v_ashrrev_i32_e32 v17, 31, v16
	v_lshlrev_b64 v[16:17], 2, v[16:17]
	v_add_co_u32_e32 v16, vcc, s12, v16
	v_addc_co_u32_e32 v17, vcc, v5, v17, vcc
	global_load_dword v5, v[16:17], off
.LBB2_8:                                ;   in Loop: Header=BB2_6 Depth=2
	s_or_b64 exec, exec, s[18:19]
	s_andn2_b64 vcc, exec, s[4:5]
	s_cbranch_vccnz .LBB2_5
; %bb.9:                                ;   in Loop: Header=BB2_6 Depth=2
	s_mov_b32 s9, 1
.LBB2_10:                               ;   Parent Loop BB2_3 Depth=1
                                        ;     Parent Loop BB2_6 Depth=2
                                        ; =>    This Inner Loop Header: Depth=3
	v_subrev_u32_e32 v16, s9, v6
	v_cmp_lt_i32_e32 vcc, v16, v7
	v_cndmask_b32_e32 v16, v16, v6, vcc
	v_lshlrev_b32_e32 v16, 2, v16
	s_waitcnt vmcnt(0)
	ds_bpermute_b32 v16, v16, v5
	v_cmp_gt_u32_e32 vcc, s9, v0
	s_lshl_b32 s9, s9, 1
	s_cmp_ge_u32 s9, s21
	s_waitcnt lgkmcnt(0)
	v_add_f32_e32 v16, v5, v16
	v_cndmask_b32_e32 v5, v16, v5, vcc
	s_cbranch_scc0 .LBB2_10
	s_branch .LBB2_5
.LBB2_11:                               ;   in Loop: Header=BB2_3 Depth=1
	s_or_b64 exec, exec, s[16:17]
.LBB2_12:                               ;   in Loop: Header=BB2_3 Depth=1
	s_or_b64 exec, exec, s[6:7]
	ds_bpermute_b32 v4, v8, v5
	s_and_saveexec_b64 s[6:7], s[0:1]
	s_cbranch_execz .LBB2_2
; %bb.13:                               ;   in Loop: Header=BB2_3 Depth=1
	v_mov_b32_e32 v5, s15
	v_add_co_u32_e32 v2, vcc, s14, v2
	v_addc_co_u32_e32 v3, vcc, v5, v3, vcc
	s_waitcnt lgkmcnt(0)
	global_store_dword v[2:3], v4, off
	s_branch .LBB2_2
.LBB2_14:
	s_endpgm
	.section	.rodata,"a",@progbits
	.p2align	6, 0x0
	.amdhsa_kernel _Z15jaccard_row_sumILb1EfEviPKiS1_PKT0_PS2_
		.amdhsa_group_segment_fixed_size 0
		.amdhsa_private_segment_fixed_size 0
		.amdhsa_kernarg_size 296
		.amdhsa_user_sgpr_count 6
		.amdhsa_user_sgpr_private_segment_buffer 1
		.amdhsa_user_sgpr_dispatch_ptr 0
		.amdhsa_user_sgpr_queue_ptr 0
		.amdhsa_user_sgpr_kernarg_segment_ptr 1
		.amdhsa_user_sgpr_dispatch_id 0
		.amdhsa_user_sgpr_flat_scratch_init 0
		.amdhsa_user_sgpr_private_segment_size 0
		.amdhsa_uses_dynamic_stack 0
		.amdhsa_system_sgpr_private_segment_wavefront_offset 0
		.amdhsa_system_sgpr_workgroup_id_x 1
		.amdhsa_system_sgpr_workgroup_id_y 1
		.amdhsa_system_sgpr_workgroup_id_z 0
		.amdhsa_system_sgpr_workgroup_info 0
		.amdhsa_system_vgpr_workitem_id 1
		.amdhsa_next_free_vgpr 18
		.amdhsa_next_free_sgpr 24
		.amdhsa_reserve_vcc 1
		.amdhsa_reserve_flat_scratch 0
		.amdhsa_float_round_mode_32 0
		.amdhsa_float_round_mode_16_64 0
		.amdhsa_float_denorm_mode_32 3
		.amdhsa_float_denorm_mode_16_64 3
		.amdhsa_dx10_clamp 1
		.amdhsa_ieee_mode 1
		.amdhsa_fp16_overflow 0
		.amdhsa_exception_fp_ieee_invalid_op 0
		.amdhsa_exception_fp_denorm_src 0
		.amdhsa_exception_fp_ieee_div_zero 0
		.amdhsa_exception_fp_ieee_overflow 0
		.amdhsa_exception_fp_ieee_underflow 0
		.amdhsa_exception_fp_ieee_inexact 0
		.amdhsa_exception_int_div_zero 0
	.end_amdhsa_kernel
	.section	.text._Z15jaccard_row_sumILb1EfEviPKiS1_PKT0_PS2_,"axG",@progbits,_Z15jaccard_row_sumILb1EfEviPKiS1_PKT0_PS2_,comdat
.Lfunc_end2:
	.size	_Z15jaccard_row_sumILb1EfEviPKiS1_PKT0_PS2_, .Lfunc_end2-_Z15jaccard_row_sumILb1EfEviPKiS1_PKT0_PS2_
                                        ; -- End function
	.set _Z15jaccard_row_sumILb1EfEviPKiS1_PKT0_PS2_.num_vgpr, 18
	.set _Z15jaccard_row_sumILb1EfEviPKiS1_PKT0_PS2_.num_agpr, 0
	.set _Z15jaccard_row_sumILb1EfEviPKiS1_PKT0_PS2_.numbered_sgpr, 24
	.set _Z15jaccard_row_sumILb1EfEviPKiS1_PKT0_PS2_.num_named_barrier, 0
	.set _Z15jaccard_row_sumILb1EfEviPKiS1_PKT0_PS2_.private_seg_size, 0
	.set _Z15jaccard_row_sumILb1EfEviPKiS1_PKT0_PS2_.uses_vcc, 1
	.set _Z15jaccard_row_sumILb1EfEviPKiS1_PKT0_PS2_.uses_flat_scratch, 0
	.set _Z15jaccard_row_sumILb1EfEviPKiS1_PKT0_PS2_.has_dyn_sized_stack, 0
	.set _Z15jaccard_row_sumILb1EfEviPKiS1_PKT0_PS2_.has_recursion, 0
	.set _Z15jaccard_row_sumILb1EfEviPKiS1_PKT0_PS2_.has_indirect_call, 0
	.section	.AMDGPU.csdata,"",@progbits
; Kernel info:
; codeLenInByte = 616
; TotalNumSgprs: 28
; NumVgprs: 18
; ScratchSize: 0
; MemoryBound: 0
; FloatMode: 240
; IeeeMode: 1
; LDSByteSize: 0 bytes/workgroup (compile time only)
; SGPRBlocks: 3
; VGPRBlocks: 4
; NumSGPRsForWavesPerEU: 28
; NumVGPRsForWavesPerEU: 18
; Occupancy: 10
; WaveLimiterHint : 1
; COMPUTE_PGM_RSRC2:SCRATCH_EN: 0
; COMPUTE_PGM_RSRC2:USER_SGPR: 6
; COMPUTE_PGM_RSRC2:TRAP_HANDLER: 0
; COMPUTE_PGM_RSRC2:TGID_X_EN: 1
; COMPUTE_PGM_RSRC2:TGID_Y_EN: 1
; COMPUTE_PGM_RSRC2:TGID_Z_EN: 0
; COMPUTE_PGM_RSRC2:TIDIG_COMP_CNT: 1
	.section	.text._Z14jaccard_is_optILb1EfEviiPKiS1_PKT0_S4_PS2_S5_,"axG",@progbits,_Z14jaccard_is_optILb1EfEviiPKiS1_PKT0_S4_PS2_S5_,comdat
	.protected	_Z14jaccard_is_optILb1EfEviiPKiS1_PKT0_S4_PS2_S5_ ; -- Begin function _Z14jaccard_is_optILb1EfEviiPKiS1_PKT0_S4_PS2_S5_
	.globl	_Z14jaccard_is_optILb1EfEviiPKiS1_PKT0_S4_PS2_S5_
	.p2align	8
	.type	_Z14jaccard_is_optILb1EfEviiPKiS1_PKT0_S4_PS2_S5_,@function
_Z14jaccard_is_optILb1EfEviiPKiS1_PKT0_S4_PS2_S5_: ; @_Z14jaccard_is_optILb1EfEviiPKiS1_PKT0_S4_PS2_S5_
; %bb.0:
	s_load_dword s2, s[4:5], 0x48
	s_load_dword s28, s[4:5], 0x0
	s_add_u32 s0, s4, 56
	s_addc_u32 s1, s5, 0
	s_waitcnt lgkmcnt(0)
	s_and_b32 s2, s2, 0xffff
	s_mul_i32 s8, s8, s2
	v_add_u32_e32 v2, s8, v2
	v_cmp_gt_i32_e32 vcc, s28, v2
	s_and_saveexec_b64 s[8:9], vcc
	s_cbranch_execz .LBB3_22
; %bb.1:
	s_load_dword s3, s[0:1], 0xc
	s_load_dwordx2 s[20:21], s[0:1], 0x4
	s_load_dwordx8 s[8:15], s[4:5], 0x8
	s_load_dwordx4 s[16:19], s[4:5], 0x28
	v_cmp_eq_u32_e32 vcc, 0, v0
	s_waitcnt lgkmcnt(0)
	s_lshr_b32 s0, s3, 16
	s_mul_i32 s7, s7, s0
	v_add_u32_e32 v15, s7, v1
	s_mul_i32 s29, s20, s0
	s_mul_i32 s30, s21, s2
	s_mov_b64 s[4:5], 0
	v_mov_b32_e32 v16, s9
	s_branch .LBB3_3
.LBB3_2:                                ;   in Loop: Header=BB3_3 Depth=1
	s_or_b64 exec, exec, s[6:7]
	v_add_u32_e32 v2, s30, v2
	v_cmp_le_i32_e64 s[0:1], s28, v2
	s_or_b64 s[4:5], s[0:1], s[4:5]
	s_andn2_b64 exec, exec, s[4:5]
	s_cbranch_execz .LBB3_22
.LBB3_3:                                ; =>This Loop Header: Depth=1
                                        ;     Child Loop BB3_6 Depth 2
                                        ;       Child Loop BB3_10 Depth 3
                                        ;       Child Loop BB3_21 Depth 3
	v_ashrrev_i32_e32 v3, 31, v2
	v_lshlrev_b64 v[4:5], 2, v[2:3]
	v_add_co_u32_e64 v0, s[0:1], s8, v4
	v_addc_co_u32_e64 v1, s[0:1], v16, v5, s[0:1]
	global_load_dwordx2 v[0:1], v[0:1], off
	s_waitcnt vmcnt(0)
	v_add_u32_e32 v3, v0, v15
	v_cmp_lt_i32_e64 s[0:1], v3, v1
	s_and_saveexec_b64 s[6:7], s[0:1]
	s_cbranch_execz .LBB3_2
; %bb.4:                                ;   in Loop: Header=BB3_3 Depth=1
	v_mov_b32_e32 v6, s15
	v_add_co_u32_e64 v4, s[0:1], s14, v4
	v_addc_co_u32_e64 v5, s[0:1], v6, v5, s[0:1]
	global_load_dword v17, v[4:5], off
	v_sub_u32_e32 v0, v1, v0
	s_mov_b64 s[20:21], 0
	s_branch .LBB3_6
.LBB3_5:                                ;   in Loop: Header=BB3_6 Depth=2
	s_or_b64 exec, exec, s[22:23]
	v_add_u32_e32 v3, s29, v3
	v_cmp_ge_i32_e64 s[0:1], v3, v1
	s_or_b64 s[20:21], s[0:1], s[20:21]
	s_andn2_b64 exec, exec, s[20:21]
	s_cbranch_execz .LBB3_2
.LBB3_6:                                ;   Parent Loop BB3_3 Depth=1
                                        ; =>  This Loop Header: Depth=2
                                        ;       Child Loop BB3_10 Depth 3
                                        ;       Child Loop BB3_21 Depth 3
	v_ashrrev_i32_e32 v4, 31, v3
	v_lshlrev_b64 v[4:5], 2, v[3:4]
	v_mov_b32_e32 v7, s11
	v_add_co_u32_e64 v6, s[0:1], s10, v4
	v_addc_co_u32_e64 v7, s[0:1], v7, v5, s[0:1]
	global_load_dword v6, v[6:7], off
	v_mov_b32_e32 v10, s15
	s_waitcnt vmcnt(0)
	v_ashrrev_i32_e32 v7, 31, v6
	v_lshlrev_b64 v[7:8], 2, v[6:7]
	v_add_co_u32_e64 v9, s[0:1], s14, v7
	v_addc_co_u32_e64 v10, s[0:1], v10, v8, s[0:1]
	global_load_dword v9, v[9:10], off
	v_mov_b32_e32 v10, s19
	s_waitcnt vmcnt(0)
	v_add_f32_e32 v11, v17, v9
	v_add_co_u32_e64 v9, s[0:1], s18, v4
	v_addc_co_u32_e64 v10, s[0:1], v10, v5, s[0:1]
	global_store_dword v[9:10], v11, off
	s_and_saveexec_b64 s[22:23], vcc
	s_cbranch_execz .LBB3_5
; %bb.7:                                ;   in Loop: Header=BB3_6 Depth=2
	v_mov_b32_e32 v13, s9
	v_add_co_u32_e64 v7, s[0:1], s8, v7
	v_addc_co_u32_e64 v8, s[0:1], v13, v8, s[0:1]
	global_load_dwordx2 v[7:8], v[7:8], off
	v_mov_b32_e32 v18, 0
	s_waitcnt vmcnt(0)
	v_sub_u32_e32 v7, v8, v7
	v_cmp_lt_i32_e64 s[0:1], v0, v7
	v_cndmask_b32_e64 v7, v2, v6, s[0:1]
	v_ashrrev_i32_e32 v8, 31, v7
	v_cndmask_b32_e64 v9, v6, v2, s[0:1]
	v_lshlrev_b64 v[6:7], 2, v[7:8]
	v_ashrrev_i32_e32 v10, 31, v9
	v_lshlrev_b64 v[8:9], 2, v[9:10]
	v_add_co_u32_e64 v10, s[0:1], s8, v6
	v_addc_co_u32_e64 v11, s[0:1], v13, v7, s[0:1]
	v_add_co_u32_e64 v12, s[0:1], s8, v8
	v_addc_co_u32_e64 v13, s[0:1], v13, v9, s[0:1]
	global_load_dwordx2 v[6:7], v[12:13], off
	global_load_dwordx2 v[8:9], v[10:11], off
	s_waitcnt vmcnt(1)
	v_cmp_lt_i32_e64 s[0:1], v6, v7
	s_waitcnt vmcnt(0)
	v_cmp_lt_i32_e64 s[2:3], v8, v9
	s_and_b64 s[0:1], s[0:1], s[2:3]
	s_and_saveexec_b64 s[24:25], s[0:1]
	s_cbranch_execz .LBB3_19
; %bb.8:                                ;   in Loop: Header=BB3_6 Depth=2
	v_mov_b32_e32 v18, 0
	s_mov_b64 s[26:27], 0
	v_mov_b32_e32 v10, v6
	v_mov_b32_e32 v12, v8
	s_branch .LBB3_10
.LBB3_9:                                ;   in Loop: Header=BB3_10 Depth=3
	s_or_b64 exec, exec, s[2:3]
	v_cmp_ge_i32_e64 s[0:1], v10, v7
	v_cmp_ge_i32_e64 s[2:3], v12, v9
	s_or_b64 s[0:1], s[0:1], s[2:3]
	s_and_b64 s[0:1], exec, s[0:1]
	s_or_b64 s[26:27], s[0:1], s[26:27]
	s_andn2_b64 exec, exec, s[26:27]
	s_cbranch_execz .LBB3_18
.LBB3_10:                               ;   Parent Loop BB3_3 Depth=1
                                        ;     Parent Loop BB3_6 Depth=2
                                        ; =>    This Inner Loop Header: Depth=3
	v_ashrrev_i32_e32 v11, 31, v10
	v_lshlrev_b64 v[13:14], 2, v[10:11]
	v_mov_b32_e32 v6, s11
	v_add_co_u32_e64 v19, s[0:1], s10, v13
	v_ashrrev_i32_e32 v13, 31, v12
	v_addc_co_u32_e64 v20, s[0:1], v6, v14, s[0:1]
	v_lshlrev_b64 v[13:14], 2, v[12:13]
	v_add_co_u32_e64 v21, s[0:1], s10, v13
	v_addc_co_u32_e64 v22, s[0:1], v6, v14, s[0:1]
	global_load_dword v13, v[19:20], off
	global_load_dword v6, v[21:22], off
	s_waitcnt vmcnt(0)
	v_cmp_ne_u32_e64 s[0:1], v13, v6
	s_and_saveexec_b64 s[2:3], s[0:1]
	s_xor_b64 s[2:3], exec, s[2:3]
	s_cbranch_execz .LBB3_16
; %bb.11:                               ;   in Loop: Header=BB3_10 Depth=3
	v_cmp_ge_i32_e64 s[0:1], v13, v6
	s_and_saveexec_b64 s[34:35], s[0:1]
	s_xor_b64 s[0:1], exec, s[34:35]
; %bb.12:                               ;   in Loop: Header=BB3_10 Depth=3
	v_add_u32_e32 v12, 1, v12
; %bb.13:                               ;   in Loop: Header=BB3_10 Depth=3
	s_andn2_saveexec_b64 s[0:1], s[0:1]
; %bb.14:                               ;   in Loop: Header=BB3_10 Depth=3
	v_add_u32_e32 v10, 1, v10
; %bb.15:                               ;   in Loop: Header=BB3_10 Depth=3
	s_or_b64 exec, exec, s[0:1]
                                        ; implicit-def: $vgpr13
.LBB3_16:                               ;   in Loop: Header=BB3_10 Depth=3
	s_andn2_saveexec_b64 s[2:3], s[2:3]
	s_cbranch_execz .LBB3_9
; %bb.17:                               ;   in Loop: Header=BB3_10 Depth=3
	v_ashrrev_i32_e32 v14, 31, v13
	v_lshlrev_b64 v[13:14], 2, v[13:14]
	v_mov_b32_e32 v6, s13
	v_add_co_u32_e64 v13, s[0:1], s12, v13
	v_addc_co_u32_e64 v14, s[0:1], v6, v14, s[0:1]
	global_load_dword v6, v[13:14], off
	v_add_u32_e32 v10, 1, v10
	v_add_u32_e32 v12, 1, v12
	s_waitcnt vmcnt(0)
	v_add_f32_e32 v18, v18, v6
	s_branch .LBB3_9
.LBB3_18:                               ;   in Loop: Header=BB3_6 Depth=2
	s_or_b64 exec, exec, s[26:27]
.LBB3_19:                               ;   in Loop: Header=BB3_6 Depth=2
	s_or_b64 exec, exec, s[24:25]
	v_cmp_neq_f32_e64 s[0:1], 0, v18
	s_and_b64 exec, exec, s[0:1]
	s_cbranch_execz .LBB3_5
; %bb.20:                               ;   in Loop: Header=BB3_6 Depth=2
	v_mov_b32_e32 v6, s17
	v_add_co_u32_e64 v4, s[0:1], s16, v4
	v_addc_co_u32_e64 v5, s[0:1], v6, v5, s[0:1]
	global_load_dword v7, v[4:5], off
	s_mov_b64 s[2:3], 0
.LBB3_21:                               ;   Parent Loop BB3_3 Depth=1
                                        ;     Parent Loop BB3_6 Depth=2
                                        ; =>    This Inner Loop Header: Depth=3
	s_waitcnt vmcnt(0)
	v_add_f32_e32 v6, v7, v18
	global_atomic_cmpswap v6, v[4:5], v[6:7], off glc
	s_waitcnt vmcnt(0)
	v_cmp_eq_u32_e64 s[0:1], v6, v7
	s_or_b64 s[2:3], s[0:1], s[2:3]
	v_mov_b32_e32 v7, v6
	s_andn2_b64 exec, exec, s[2:3]
	s_cbranch_execnz .LBB3_21
	s_branch .LBB3_5
.LBB3_22:
	s_endpgm
	.section	.rodata,"a",@progbits
	.p2align	6, 0x0
	.amdhsa_kernel _Z14jaccard_is_optILb1EfEviiPKiS1_PKT0_S4_PS2_S5_
		.amdhsa_group_segment_fixed_size 0
		.amdhsa_private_segment_fixed_size 0
		.amdhsa_kernarg_size 312
		.amdhsa_user_sgpr_count 6
		.amdhsa_user_sgpr_private_segment_buffer 1
		.amdhsa_user_sgpr_dispatch_ptr 0
		.amdhsa_user_sgpr_queue_ptr 0
		.amdhsa_user_sgpr_kernarg_segment_ptr 1
		.amdhsa_user_sgpr_dispatch_id 0
		.amdhsa_user_sgpr_flat_scratch_init 0
		.amdhsa_user_sgpr_private_segment_size 0
		.amdhsa_uses_dynamic_stack 0
		.amdhsa_system_sgpr_private_segment_wavefront_offset 0
		.amdhsa_system_sgpr_workgroup_id_x 1
		.amdhsa_system_sgpr_workgroup_id_y 1
		.amdhsa_system_sgpr_workgroup_id_z 1
		.amdhsa_system_sgpr_workgroup_info 0
		.amdhsa_system_vgpr_workitem_id 2
		.amdhsa_next_free_vgpr 23
		.amdhsa_next_free_sgpr 36
		.amdhsa_reserve_vcc 1
		.amdhsa_reserve_flat_scratch 0
		.amdhsa_float_round_mode_32 0
		.amdhsa_float_round_mode_16_64 0
		.amdhsa_float_denorm_mode_32 3
		.amdhsa_float_denorm_mode_16_64 3
		.amdhsa_dx10_clamp 1
		.amdhsa_ieee_mode 1
		.amdhsa_fp16_overflow 0
		.amdhsa_exception_fp_ieee_invalid_op 0
		.amdhsa_exception_fp_denorm_src 0
		.amdhsa_exception_fp_ieee_div_zero 0
		.amdhsa_exception_fp_ieee_overflow 0
		.amdhsa_exception_fp_ieee_underflow 0
		.amdhsa_exception_fp_ieee_inexact 0
		.amdhsa_exception_int_div_zero 0
	.end_amdhsa_kernel
	.section	.text._Z14jaccard_is_optILb1EfEviiPKiS1_PKT0_S4_PS2_S5_,"axG",@progbits,_Z14jaccard_is_optILb1EfEviiPKiS1_PKT0_S4_PS2_S5_,comdat
.Lfunc_end3:
	.size	_Z14jaccard_is_optILb1EfEviiPKiS1_PKT0_S4_PS2_S5_, .Lfunc_end3-_Z14jaccard_is_optILb1EfEviiPKiS1_PKT0_S4_PS2_S5_
                                        ; -- End function
	.set _Z14jaccard_is_optILb1EfEviiPKiS1_PKT0_S4_PS2_S5_.num_vgpr, 23
	.set _Z14jaccard_is_optILb1EfEviiPKiS1_PKT0_S4_PS2_S5_.num_agpr, 0
	.set _Z14jaccard_is_optILb1EfEviiPKiS1_PKT0_S4_PS2_S5_.numbered_sgpr, 36
	.set _Z14jaccard_is_optILb1EfEviiPKiS1_PKT0_S4_PS2_S5_.num_named_barrier, 0
	.set _Z14jaccard_is_optILb1EfEviiPKiS1_PKT0_S4_PS2_S5_.private_seg_size, 0
	.set _Z14jaccard_is_optILb1EfEviiPKiS1_PKT0_S4_PS2_S5_.uses_vcc, 1
	.set _Z14jaccard_is_optILb1EfEviiPKiS1_PKT0_S4_PS2_S5_.uses_flat_scratch, 0
	.set _Z14jaccard_is_optILb1EfEviiPKiS1_PKT0_S4_PS2_S5_.has_dyn_sized_stack, 0
	.set _Z14jaccard_is_optILb1EfEviiPKiS1_PKT0_S4_PS2_S5_.has_recursion, 0
	.set _Z14jaccard_is_optILb1EfEviiPKiS1_PKT0_S4_PS2_S5_.has_indirect_call, 0
	.section	.AMDGPU.csdata,"",@progbits
; Kernel info:
; codeLenInByte = 952
; TotalNumSgprs: 40
; NumVgprs: 23
; ScratchSize: 0
; MemoryBound: 0
; FloatMode: 240
; IeeeMode: 1
; LDSByteSize: 0 bytes/workgroup (compile time only)
; SGPRBlocks: 4
; VGPRBlocks: 5
; NumSGPRsForWavesPerEU: 40
; NumVGPRsForWavesPerEU: 23
; Occupancy: 10
; WaveLimiterHint : 1
; COMPUTE_PGM_RSRC2:SCRATCH_EN: 0
; COMPUTE_PGM_RSRC2:USER_SGPR: 6
; COMPUTE_PGM_RSRC2:TRAP_HANDLER: 0
; COMPUTE_PGM_RSRC2:TGID_X_EN: 1
; COMPUTE_PGM_RSRC2:TGID_Y_EN: 1
; COMPUTE_PGM_RSRC2:TGID_Z_EN: 1
; COMPUTE_PGM_RSRC2:TIDIG_COMP_CNT: 2
	.section	.text._Z10jaccard_jwILb1EfEviPKT0_S0_S2_S2_PS0_,"axG",@progbits,_Z10jaccard_jwILb1EfEviPKT0_S0_S2_S2_PS0_,comdat
	.protected	_Z10jaccard_jwILb1EfEviPKT0_S0_S2_S2_PS0_ ; -- Begin function _Z10jaccard_jwILb1EfEviPKT0_S0_S2_S2_PS0_
	.globl	_Z10jaccard_jwILb1EfEviPKT0_S0_S2_S2_PS0_
	.p2align	8
	.type	_Z10jaccard_jwILb1EfEviPKT0_S0_S2_S2_PS0_,@function
_Z10jaccard_jwILb1EfEviPKT0_S0_S2_S2_PS0_: ; @_Z10jaccard_jwILb1EfEviPKT0_S0_S2_S2_PS0_
; %bb.0:
	s_load_dword s2, s[4:5], 0x3c
	s_load_dword s12, s[4:5], 0x0
	s_add_u32 s0, s4, 48
	s_addc_u32 s1, s5, 0
	s_waitcnt lgkmcnt(0)
	s_and_b32 s14, s2, 0xffff
	s_mul_i32 s6, s6, s14
	v_add_u32_e32 v0, s6, v0
	v_cmp_gt_i32_e32 vcc, s12, v0
	s_and_saveexec_b64 s[2:3], vcc
	s_cbranch_execz .LBB4_3
; %bb.1:
	s_load_dword s15, s[0:1], 0x0
	s_load_dwordx4 s[8:11], s[4:5], 0x18
	s_load_dwordx2 s[2:3], s[4:5], 0x28
	s_load_dwordx2 s[6:7], s[4:5], 0x8
	s_load_dword s13, s[4:5], 0x10
	s_waitcnt lgkmcnt(0)
	s_mul_i32 s14, s15, s14
	s_mov_b64 s[4:5], 0
	v_mov_b32_e32 v2, s9
	v_mov_b32_e32 v3, s11
	;; [unrolled: 1-line block ×4, first 2 shown]
.LBB4_2:                                ; =>This Inner Loop Header: Depth=1
	v_ashrrev_i32_e32 v1, 31, v0
	v_lshlrev_b64 v[6:7], 2, v[0:1]
	v_add_u32_e32 v0, s14, v0
	v_add_co_u32_e32 v8, vcc, s8, v6
	v_addc_co_u32_e32 v9, vcc, v2, v7, vcc
	global_load_dword v1, v[8:9], off
	v_add_co_u32_e32 v8, vcc, s10, v6
	v_addc_co_u32_e32 v9, vcc, v3, v7, vcc
	global_load_dword v10, v[8:9], off
	;; [unrolled: 3-line block ×3, first 2 shown]
	s_waitcnt vmcnt(1)
	v_sub_f32_e32 v9, v10, v1
	v_div_scale_f32 v10, s[0:1], v9, v9, v1
	v_div_scale_f32 v11, vcc, v1, v9, v1
	v_add_co_u32_e64 v6, s[0:1], s2, v6
	s_waitcnt vmcnt(0)
	v_mul_f32_e32 v8, s13, v8
	v_addc_co_u32_e64 v7, s[0:1], v5, v7, s[0:1]
	v_rcp_f32_e32 v12, v10
	v_fma_f32 v13, -v10, v12, 1.0
	v_fmac_f32_e32 v12, v13, v12
	v_mul_f32_e32 v13, v11, v12
	v_fma_f32 v14, -v10, v13, v11
	v_fmac_f32_e32 v13, v14, v12
	v_fma_f32 v10, -v10, v13, v11
	v_div_fmas_f32 v10, v10, v12, v13
	v_cmp_le_i32_e32 vcc, s12, v0
	s_or_b64 s[4:5], vcc, s[4:5]
	v_div_fixup_f32 v1, v10, v9, v1
	v_mul_f32_e32 v1, v8, v1
	global_store_dword v[6:7], v1, off
	s_andn2_b64 exec, exec, s[4:5]
	s_cbranch_execnz .LBB4_2
.LBB4_3:
	s_endpgm
	.section	.rodata,"a",@progbits
	.p2align	6, 0x0
	.amdhsa_kernel _Z10jaccard_jwILb1EfEviPKT0_S0_S2_S2_PS0_
		.amdhsa_group_segment_fixed_size 0
		.amdhsa_private_segment_fixed_size 0
		.amdhsa_kernarg_size 304
		.amdhsa_user_sgpr_count 6
		.amdhsa_user_sgpr_private_segment_buffer 1
		.amdhsa_user_sgpr_dispatch_ptr 0
		.amdhsa_user_sgpr_queue_ptr 0
		.amdhsa_user_sgpr_kernarg_segment_ptr 1
		.amdhsa_user_sgpr_dispatch_id 0
		.amdhsa_user_sgpr_flat_scratch_init 0
		.amdhsa_user_sgpr_private_segment_size 0
		.amdhsa_uses_dynamic_stack 0
		.amdhsa_system_sgpr_private_segment_wavefront_offset 0
		.amdhsa_system_sgpr_workgroup_id_x 1
		.amdhsa_system_sgpr_workgroup_id_y 0
		.amdhsa_system_sgpr_workgroup_id_z 0
		.amdhsa_system_sgpr_workgroup_info 0
		.amdhsa_system_vgpr_workitem_id 0
		.amdhsa_next_free_vgpr 15
		.amdhsa_next_free_sgpr 16
		.amdhsa_reserve_vcc 1
		.amdhsa_reserve_flat_scratch 0
		.amdhsa_float_round_mode_32 0
		.amdhsa_float_round_mode_16_64 0
		.amdhsa_float_denorm_mode_32 3
		.amdhsa_float_denorm_mode_16_64 3
		.amdhsa_dx10_clamp 1
		.amdhsa_ieee_mode 1
		.amdhsa_fp16_overflow 0
		.amdhsa_exception_fp_ieee_invalid_op 0
		.amdhsa_exception_fp_denorm_src 0
		.amdhsa_exception_fp_ieee_div_zero 0
		.amdhsa_exception_fp_ieee_overflow 0
		.amdhsa_exception_fp_ieee_underflow 0
		.amdhsa_exception_fp_ieee_inexact 0
		.amdhsa_exception_int_div_zero 0
	.end_amdhsa_kernel
	.section	.text._Z10jaccard_jwILb1EfEviPKT0_S0_S2_S2_PS0_,"axG",@progbits,_Z10jaccard_jwILb1EfEviPKT0_S0_S2_S2_PS0_,comdat
.Lfunc_end4:
	.size	_Z10jaccard_jwILb1EfEviPKT0_S0_S2_S2_PS0_, .Lfunc_end4-_Z10jaccard_jwILb1EfEviPKT0_S0_S2_S2_PS0_
                                        ; -- End function
	.set _Z10jaccard_jwILb1EfEviPKT0_S0_S2_S2_PS0_.num_vgpr, 15
	.set _Z10jaccard_jwILb1EfEviPKT0_S0_S2_S2_PS0_.num_agpr, 0
	.set _Z10jaccard_jwILb1EfEviPKT0_S0_S2_S2_PS0_.numbered_sgpr, 16
	.set _Z10jaccard_jwILb1EfEviPKT0_S0_S2_S2_PS0_.num_named_barrier, 0
	.set _Z10jaccard_jwILb1EfEviPKT0_S0_S2_S2_PS0_.private_seg_size, 0
	.set _Z10jaccard_jwILb1EfEviPKT0_S0_S2_S2_PS0_.uses_vcc, 1
	.set _Z10jaccard_jwILb1EfEviPKT0_S0_S2_S2_PS0_.uses_flat_scratch, 0
	.set _Z10jaccard_jwILb1EfEviPKT0_S0_S2_S2_PS0_.has_dyn_sized_stack, 0
	.set _Z10jaccard_jwILb1EfEviPKT0_S0_S2_S2_PS0_.has_recursion, 0
	.set _Z10jaccard_jwILb1EfEviPKT0_S0_S2_S2_PS0_.has_indirect_call, 0
	.section	.AMDGPU.csdata,"",@progbits
; Kernel info:
; codeLenInByte = 324
; TotalNumSgprs: 20
; NumVgprs: 15
; ScratchSize: 0
; MemoryBound: 0
; FloatMode: 240
; IeeeMode: 1
; LDSByteSize: 0 bytes/workgroup (compile time only)
; SGPRBlocks: 2
; VGPRBlocks: 3
; NumSGPRsForWavesPerEU: 20
; NumVGPRsForWavesPerEU: 15
; Occupancy: 10
; WaveLimiterHint : 0
; COMPUTE_PGM_RSRC2:SCRATCH_EN: 0
; COMPUTE_PGM_RSRC2:USER_SGPR: 6
; COMPUTE_PGM_RSRC2:TRAP_HANDLER: 0
; COMPUTE_PGM_RSRC2:TGID_X_EN: 1
; COMPUTE_PGM_RSRC2:TGID_Y_EN: 0
; COMPUTE_PGM_RSRC2:TGID_Z_EN: 0
; COMPUTE_PGM_RSRC2:TIDIG_COMP_CNT: 0
	.section	.text._Z15jaccard_row_sumILb0EfEviPKiS1_PKT0_PS2_,"axG",@progbits,_Z15jaccard_row_sumILb0EfEviPKiS1_PKT0_PS2_,comdat
	.protected	_Z15jaccard_row_sumILb0EfEviPKiS1_PKT0_PS2_ ; -- Begin function _Z15jaccard_row_sumILb0EfEviPKiS1_PKT0_PS2_
	.globl	_Z15jaccard_row_sumILb0EfEviPKiS1_PKT0_PS2_
	.p2align	8
	.type	_Z15jaccard_row_sumILb0EfEviPKiS1_PKT0_PS2_,@function
_Z15jaccard_row_sumILb0EfEviPKiS1_PKT0_PS2_: ; @_Z15jaccard_row_sumILb0EfEviPKiS1_PKT0_PS2_
; %bb.0:
	s_load_dword s0, s[4:5], 0x34
	s_load_dword s6, s[4:5], 0x0
	s_add_u32 s8, s4, 40
	s_addc_u32 s9, s5, 0
	s_waitcnt lgkmcnt(0)
	s_lshr_b32 s10, s0, 16
	s_mul_i32 s7, s7, s10
	v_add_u32_e32 v0, s7, v1
	v_cmp_gt_i32_e32 vcc, s6, v0
	s_and_saveexec_b64 s[0:1], vcc
	s_cbranch_execz .LBB5_3
; %bb.1:
	s_load_dword s7, s[8:9], 0x4
	s_load_dwordx2 s[0:1], s[4:5], 0x8
	s_load_dwordx2 s[2:3], s[4:5], 0x20
	s_mov_b64 s[4:5], 0
	s_waitcnt lgkmcnt(0)
	s_mul_i32 s7, s7, s10
	v_mov_b32_e32 v2, s1
	v_mov_b32_e32 v3, s3
.LBB5_2:                                ; =>This Inner Loop Header: Depth=1
	v_ashrrev_i32_e32 v1, 31, v0
	v_lshlrev_b64 v[4:5], 2, v[0:1]
	v_add_u32_e32 v0, s7, v0
	v_add_co_u32_e32 v6, vcc, s0, v4
	v_addc_co_u32_e32 v7, vcc, v2, v5, vcc
	global_load_dwordx2 v[6:7], v[6:7], off
	v_add_co_u32_e32 v4, vcc, s2, v4
	v_addc_co_u32_e32 v5, vcc, v3, v5, vcc
	v_cmp_le_i32_e32 vcc, s6, v0
	s_or_b64 s[4:5], vcc, s[4:5]
	s_waitcnt vmcnt(0)
	v_sub_u32_e32 v1, v7, v6
	v_cvt_f32_i32_e32 v1, v1
	global_store_dword v[4:5], v1, off
	s_andn2_b64 exec, exec, s[4:5]
	s_cbranch_execnz .LBB5_2
.LBB5_3:
	s_endpgm
	.section	.rodata,"a",@progbits
	.p2align	6, 0x0
	.amdhsa_kernel _Z15jaccard_row_sumILb0EfEviPKiS1_PKT0_PS2_
		.amdhsa_group_segment_fixed_size 0
		.amdhsa_private_segment_fixed_size 0
		.amdhsa_kernarg_size 296
		.amdhsa_user_sgpr_count 6
		.amdhsa_user_sgpr_private_segment_buffer 1
		.amdhsa_user_sgpr_dispatch_ptr 0
		.amdhsa_user_sgpr_queue_ptr 0
		.amdhsa_user_sgpr_kernarg_segment_ptr 1
		.amdhsa_user_sgpr_dispatch_id 0
		.amdhsa_user_sgpr_flat_scratch_init 0
		.amdhsa_user_sgpr_private_segment_size 0
		.amdhsa_uses_dynamic_stack 0
		.amdhsa_system_sgpr_private_segment_wavefront_offset 0
		.amdhsa_system_sgpr_workgroup_id_x 1
		.amdhsa_system_sgpr_workgroup_id_y 1
		.amdhsa_system_sgpr_workgroup_id_z 0
		.amdhsa_system_sgpr_workgroup_info 0
		.amdhsa_system_vgpr_workitem_id 1
		.amdhsa_next_free_vgpr 8
		.amdhsa_next_free_sgpr 11
		.amdhsa_reserve_vcc 1
		.amdhsa_reserve_flat_scratch 0
		.amdhsa_float_round_mode_32 0
		.amdhsa_float_round_mode_16_64 0
		.amdhsa_float_denorm_mode_32 3
		.amdhsa_float_denorm_mode_16_64 3
		.amdhsa_dx10_clamp 1
		.amdhsa_ieee_mode 1
		.amdhsa_fp16_overflow 0
		.amdhsa_exception_fp_ieee_invalid_op 0
		.amdhsa_exception_fp_denorm_src 0
		.amdhsa_exception_fp_ieee_div_zero 0
		.amdhsa_exception_fp_ieee_overflow 0
		.amdhsa_exception_fp_ieee_underflow 0
		.amdhsa_exception_fp_ieee_inexact 0
		.amdhsa_exception_int_div_zero 0
	.end_amdhsa_kernel
	.section	.text._Z15jaccard_row_sumILb0EfEviPKiS1_PKT0_PS2_,"axG",@progbits,_Z15jaccard_row_sumILb0EfEviPKiS1_PKT0_PS2_,comdat
.Lfunc_end5:
	.size	_Z15jaccard_row_sumILb0EfEviPKiS1_PKT0_PS2_, .Lfunc_end5-_Z15jaccard_row_sumILb0EfEviPKiS1_PKT0_PS2_
                                        ; -- End function
	.set _Z15jaccard_row_sumILb0EfEviPKiS1_PKT0_PS2_.num_vgpr, 8
	.set _Z15jaccard_row_sumILb0EfEviPKiS1_PKT0_PS2_.num_agpr, 0
	.set _Z15jaccard_row_sumILb0EfEviPKiS1_PKT0_PS2_.numbered_sgpr, 11
	.set _Z15jaccard_row_sumILb0EfEviPKiS1_PKT0_PS2_.num_named_barrier, 0
	.set _Z15jaccard_row_sumILb0EfEviPKiS1_PKT0_PS2_.private_seg_size, 0
	.set _Z15jaccard_row_sumILb0EfEviPKiS1_PKT0_PS2_.uses_vcc, 1
	.set _Z15jaccard_row_sumILb0EfEviPKiS1_PKT0_PS2_.uses_flat_scratch, 0
	.set _Z15jaccard_row_sumILb0EfEviPKiS1_PKT0_PS2_.has_dyn_sized_stack, 0
	.set _Z15jaccard_row_sumILb0EfEviPKiS1_PKT0_PS2_.has_recursion, 0
	.set _Z15jaccard_row_sumILb0EfEviPKiS1_PKT0_PS2_.has_indirect_call, 0
	.section	.AMDGPU.csdata,"",@progbits
; Kernel info:
; codeLenInByte = 176
; TotalNumSgprs: 15
; NumVgprs: 8
; ScratchSize: 0
; MemoryBound: 0
; FloatMode: 240
; IeeeMode: 1
; LDSByteSize: 0 bytes/workgroup (compile time only)
; SGPRBlocks: 1
; VGPRBlocks: 1
; NumSGPRsForWavesPerEU: 15
; NumVGPRsForWavesPerEU: 8
; Occupancy: 10
; WaveLimiterHint : 0
; COMPUTE_PGM_RSRC2:SCRATCH_EN: 0
; COMPUTE_PGM_RSRC2:USER_SGPR: 6
; COMPUTE_PGM_RSRC2:TRAP_HANDLER: 0
; COMPUTE_PGM_RSRC2:TGID_X_EN: 1
; COMPUTE_PGM_RSRC2:TGID_Y_EN: 1
; COMPUTE_PGM_RSRC2:TGID_Z_EN: 0
; COMPUTE_PGM_RSRC2:TIDIG_COMP_CNT: 1
	.section	.text._Z14jaccard_is_optILb0EfEviiPKiS1_PKT0_S4_PS2_S5_,"axG",@progbits,_Z14jaccard_is_optILb0EfEviiPKiS1_PKT0_S4_PS2_S5_,comdat
	.protected	_Z14jaccard_is_optILb0EfEviiPKiS1_PKT0_S4_PS2_S5_ ; -- Begin function _Z14jaccard_is_optILb0EfEviiPKiS1_PKT0_S4_PS2_S5_
	.globl	_Z14jaccard_is_optILb0EfEviiPKiS1_PKT0_S4_PS2_S5_
	.p2align	8
	.type	_Z14jaccard_is_optILb0EfEviiPKiS1_PKT0_S4_PS2_S5_,@function
_Z14jaccard_is_optILb0EfEviiPKiS1_PKT0_S4_PS2_S5_: ; @_Z14jaccard_is_optILb0EfEviiPKiS1_PKT0_S4_PS2_S5_
; %bb.0:
	s_load_dword s2, s[4:5], 0x48
	s_load_dword s26, s[4:5], 0x0
	s_add_u32 s0, s4, 56
	s_addc_u32 s1, s5, 0
	s_waitcnt lgkmcnt(0)
	s_and_b32 s2, s2, 0xffff
	s_mul_i32 s8, s8, s2
	v_add_u32_e32 v2, s8, v2
	v_cmp_gt_i32_e32 vcc, s26, v2
	s_and_saveexec_b64 s[8:9], vcc
	s_cbranch_execz .LBB6_22
; %bb.1:
	s_load_dword s3, s[0:1], 0xc
	s_load_dwordx2 s[18:19], s[0:1], 0x4
	s_load_dwordx4 s[8:11], s[4:5], 0x8
	s_load_dwordx4 s[12:15], s[4:5], 0x20
	s_load_dwordx2 s[16:17], s[4:5], 0x30
	s_waitcnt lgkmcnt(0)
	s_lshr_b32 s0, s3, 16
	s_mul_i32 s7, s7, s0
	v_add_u32_e32 v14, s7, v1
	v_cmp_eq_u32_e32 vcc, 0, v0
	s_mul_i32 s27, s18, s0
	s_mul_i32 s28, s19, s2
	s_mov_b64 s[4:5], 0
	v_mov_b32_e32 v15, s9
	s_branch .LBB6_3
.LBB6_2:                                ;   in Loop: Header=BB6_3 Depth=1
	s_or_b64 exec, exec, s[6:7]
	v_add_u32_e32 v2, s28, v2
	v_cmp_le_i32_e64 s[0:1], s26, v2
	s_or_b64 s[4:5], s[0:1], s[4:5]
	s_andn2_b64 exec, exec, s[4:5]
	s_cbranch_execz .LBB6_22
.LBB6_3:                                ; =>This Loop Header: Depth=1
                                        ;     Child Loop BB6_6 Depth 2
                                        ;       Child Loop BB6_10 Depth 3
                                        ;       Child Loop BB6_21 Depth 3
	v_ashrrev_i32_e32 v3, 31, v2
	v_lshlrev_b64 v[4:5], 2, v[2:3]
	v_add_co_u32_e64 v0, s[0:1], s8, v4
	v_addc_co_u32_e64 v1, s[0:1], v15, v5, s[0:1]
	global_load_dwordx2 v[0:1], v[0:1], off
	s_waitcnt vmcnt(0)
	v_add_u32_e32 v3, v0, v14
	v_cmp_lt_i32_e64 s[0:1], v3, v1
	s_and_saveexec_b64 s[6:7], s[0:1]
	s_cbranch_execz .LBB6_2
; %bb.4:                                ;   in Loop: Header=BB6_3 Depth=1
	v_mov_b32_e32 v6, s13
	v_add_co_u32_e64 v4, s[0:1], s12, v4
	v_addc_co_u32_e64 v5, s[0:1], v6, v5, s[0:1]
	global_load_dword v16, v[4:5], off
	v_sub_u32_e32 v0, v1, v0
	s_mov_b64 s[18:19], 0
	s_branch .LBB6_6
.LBB6_5:                                ;   in Loop: Header=BB6_6 Depth=2
	s_or_b64 exec, exec, s[20:21]
	v_add_u32_e32 v3, s27, v3
	v_cmp_ge_i32_e64 s[0:1], v3, v1
	s_or_b64 s[18:19], s[0:1], s[18:19]
	s_andn2_b64 exec, exec, s[18:19]
	s_cbranch_execz .LBB6_2
.LBB6_6:                                ;   Parent Loop BB6_3 Depth=1
                                        ; =>  This Loop Header: Depth=2
                                        ;       Child Loop BB6_10 Depth 3
                                        ;       Child Loop BB6_21 Depth 3
	v_ashrrev_i32_e32 v4, 31, v3
	v_lshlrev_b64 v[4:5], 2, v[3:4]
	v_mov_b32_e32 v7, s11
	v_add_co_u32_e64 v6, s[0:1], s10, v4
	v_addc_co_u32_e64 v7, s[0:1], v7, v5, s[0:1]
	global_load_dword v6, v[6:7], off
	v_mov_b32_e32 v10, s13
	s_waitcnt vmcnt(0)
	v_ashrrev_i32_e32 v7, 31, v6
	v_lshlrev_b64 v[7:8], 2, v[6:7]
	v_add_co_u32_e64 v9, s[0:1], s12, v7
	v_addc_co_u32_e64 v10, s[0:1], v10, v8, s[0:1]
	global_load_dword v9, v[9:10], off
	v_mov_b32_e32 v10, s17
	s_waitcnt vmcnt(0)
	v_add_f32_e32 v11, v16, v9
	v_add_co_u32_e64 v9, s[0:1], s16, v4
	v_addc_co_u32_e64 v10, s[0:1], v10, v5, s[0:1]
	global_store_dword v[9:10], v11, off
	s_and_saveexec_b64 s[20:21], vcc
	s_cbranch_execz .LBB6_5
; %bb.7:                                ;   in Loop: Header=BB6_6 Depth=2
	v_mov_b32_e32 v13, s9
	v_add_co_u32_e64 v7, s[0:1], s8, v7
	v_addc_co_u32_e64 v8, s[0:1], v13, v8, s[0:1]
	global_load_dwordx2 v[7:8], v[7:8], off
	v_mov_b32_e32 v17, 0
	s_waitcnt vmcnt(0)
	v_sub_u32_e32 v7, v8, v7
	v_cmp_lt_i32_e64 s[0:1], v0, v7
	v_cndmask_b32_e64 v7, v2, v6, s[0:1]
	v_ashrrev_i32_e32 v8, 31, v7
	v_cndmask_b32_e64 v9, v6, v2, s[0:1]
	v_lshlrev_b64 v[6:7], 2, v[7:8]
	v_ashrrev_i32_e32 v10, 31, v9
	v_lshlrev_b64 v[8:9], 2, v[9:10]
	v_add_co_u32_e64 v10, s[0:1], s8, v6
	v_addc_co_u32_e64 v11, s[0:1], v13, v7, s[0:1]
	v_add_co_u32_e64 v12, s[0:1], s8, v8
	v_addc_co_u32_e64 v13, s[0:1], v13, v9, s[0:1]
	global_load_dwordx2 v[6:7], v[12:13], off
	global_load_dwordx2 v[8:9], v[10:11], off
	s_waitcnt vmcnt(1)
	v_cmp_lt_i32_e64 s[0:1], v6, v7
	s_waitcnt vmcnt(0)
	v_cmp_lt_i32_e64 s[2:3], v8, v9
	s_and_b64 s[0:1], s[0:1], s[2:3]
	s_and_saveexec_b64 s[22:23], s[0:1]
	s_cbranch_execz .LBB6_19
; %bb.8:                                ;   in Loop: Header=BB6_6 Depth=2
	v_mov_b32_e32 v17, 0
	s_mov_b64 s[24:25], 0
	v_mov_b32_e32 v10, v6
	v_mov_b32_e32 v12, v8
	s_branch .LBB6_10
.LBB6_9:                                ;   in Loop: Header=BB6_10 Depth=3
	s_or_b64 exec, exec, s[0:1]
	v_cmp_ge_i32_e64 s[0:1], v10, v7
	v_cmp_ge_i32_e64 s[2:3], v12, v9
	s_or_b64 s[0:1], s[0:1], s[2:3]
	s_and_b64 s[0:1], exec, s[0:1]
	s_or_b64 s[24:25], s[0:1], s[24:25]
	s_andn2_b64 exec, exec, s[24:25]
	s_cbranch_execz .LBB6_18
.LBB6_10:                               ;   Parent Loop BB6_3 Depth=1
                                        ;     Parent Loop BB6_6 Depth=2
                                        ; =>    This Inner Loop Header: Depth=3
	v_ashrrev_i32_e32 v11, 31, v10
	v_lshlrev_b64 v[18:19], 2, v[10:11]
	v_ashrrev_i32_e32 v13, 31, v12
	v_mov_b32_e32 v6, s11
	v_add_co_u32_e64 v18, s[0:1], s10, v18
	v_lshlrev_b64 v[20:21], 2, v[12:13]
	v_addc_co_u32_e64 v19, s[0:1], v6, v19, s[0:1]
	v_add_co_u32_e64 v20, s[0:1], s10, v20
	v_addc_co_u32_e64 v21, s[0:1], v6, v21, s[0:1]
	global_load_dword v6, v[18:19], off
	global_load_dword v8, v[20:21], off
	s_waitcnt vmcnt(0)
	v_cmp_ne_u32_e64 s[0:1], v6, v8
	s_and_saveexec_b64 s[2:3], s[0:1]
	s_xor_b64 s[2:3], exec, s[2:3]
	s_cbranch_execz .LBB6_16
; %bb.11:                               ;   in Loop: Header=BB6_10 Depth=3
	v_cmp_ge_i32_e64 s[0:1], v6, v8
	s_and_saveexec_b64 s[30:31], s[0:1]
	s_xor_b64 s[0:1], exec, s[30:31]
; %bb.12:                               ;   in Loop: Header=BB6_10 Depth=3
	v_add_u32_e32 v12, 1, v12
; %bb.13:                               ;   in Loop: Header=BB6_10 Depth=3
	s_andn2_saveexec_b64 s[0:1], s[0:1]
; %bb.14:                               ;   in Loop: Header=BB6_10 Depth=3
	v_add_u32_e32 v10, 1, v10
; %bb.15:                               ;   in Loop: Header=BB6_10 Depth=3
	s_or_b64 exec, exec, s[0:1]
.LBB6_16:                               ;   in Loop: Header=BB6_10 Depth=3
	s_andn2_saveexec_b64 s[0:1], s[2:3]
	s_cbranch_execz .LBB6_9
; %bb.17:                               ;   in Loop: Header=BB6_10 Depth=3
	v_add_f32_e32 v17, 1.0, v17
	v_add_u32_e32 v10, 1, v10
	v_add_u32_e32 v12, 1, v12
	s_branch .LBB6_9
.LBB6_18:                               ;   in Loop: Header=BB6_6 Depth=2
	s_or_b64 exec, exec, s[24:25]
.LBB6_19:                               ;   in Loop: Header=BB6_6 Depth=2
	s_or_b64 exec, exec, s[22:23]
	v_cmp_neq_f32_e64 s[0:1], 0, v17
	s_and_b64 exec, exec, s[0:1]
	s_cbranch_execz .LBB6_5
; %bb.20:                               ;   in Loop: Header=BB6_6 Depth=2
	v_mov_b32_e32 v6, s15
	v_add_co_u32_e64 v4, s[0:1], s14, v4
	v_addc_co_u32_e64 v5, s[0:1], v6, v5, s[0:1]
	global_load_dword v7, v[4:5], off
	s_mov_b64 s[2:3], 0
.LBB6_21:                               ;   Parent Loop BB6_3 Depth=1
                                        ;     Parent Loop BB6_6 Depth=2
                                        ; =>    This Inner Loop Header: Depth=3
	s_waitcnt vmcnt(0)
	v_add_f32_e32 v6, v7, v17
	global_atomic_cmpswap v6, v[4:5], v[6:7], off glc
	s_waitcnt vmcnt(0)
	v_cmp_eq_u32_e64 s[0:1], v6, v7
	s_or_b64 s[2:3], s[0:1], s[2:3]
	v_mov_b32_e32 v7, v6
	s_andn2_b64 exec, exec, s[2:3]
	s_cbranch_execnz .LBB6_21
	s_branch .LBB6_5
.LBB6_22:
	s_endpgm
	.section	.rodata,"a",@progbits
	.p2align	6, 0x0
	.amdhsa_kernel _Z14jaccard_is_optILb0EfEviiPKiS1_PKT0_S4_PS2_S5_
		.amdhsa_group_segment_fixed_size 0
		.amdhsa_private_segment_fixed_size 0
		.amdhsa_kernarg_size 312
		.amdhsa_user_sgpr_count 6
		.amdhsa_user_sgpr_private_segment_buffer 1
		.amdhsa_user_sgpr_dispatch_ptr 0
		.amdhsa_user_sgpr_queue_ptr 0
		.amdhsa_user_sgpr_kernarg_segment_ptr 1
		.amdhsa_user_sgpr_dispatch_id 0
		.amdhsa_user_sgpr_flat_scratch_init 0
		.amdhsa_user_sgpr_private_segment_size 0
		.amdhsa_uses_dynamic_stack 0
		.amdhsa_system_sgpr_private_segment_wavefront_offset 0
		.amdhsa_system_sgpr_workgroup_id_x 1
		.amdhsa_system_sgpr_workgroup_id_y 1
		.amdhsa_system_sgpr_workgroup_id_z 1
		.amdhsa_system_sgpr_workgroup_info 0
		.amdhsa_system_vgpr_workitem_id 2
		.amdhsa_next_free_vgpr 22
		.amdhsa_next_free_sgpr 32
		.amdhsa_reserve_vcc 1
		.amdhsa_reserve_flat_scratch 0
		.amdhsa_float_round_mode_32 0
		.amdhsa_float_round_mode_16_64 0
		.amdhsa_float_denorm_mode_32 3
		.amdhsa_float_denorm_mode_16_64 3
		.amdhsa_dx10_clamp 1
		.amdhsa_ieee_mode 1
		.amdhsa_fp16_overflow 0
		.amdhsa_exception_fp_ieee_invalid_op 0
		.amdhsa_exception_fp_denorm_src 0
		.amdhsa_exception_fp_ieee_div_zero 0
		.amdhsa_exception_fp_ieee_overflow 0
		.amdhsa_exception_fp_ieee_underflow 0
		.amdhsa_exception_fp_ieee_inexact 0
		.amdhsa_exception_int_div_zero 0
	.end_amdhsa_kernel
	.section	.text._Z14jaccard_is_optILb0EfEviiPKiS1_PKT0_S4_PS2_S5_,"axG",@progbits,_Z14jaccard_is_optILb0EfEviiPKiS1_PKT0_S4_PS2_S5_,comdat
.Lfunc_end6:
	.size	_Z14jaccard_is_optILb0EfEviiPKiS1_PKT0_S4_PS2_S5_, .Lfunc_end6-_Z14jaccard_is_optILb0EfEviiPKiS1_PKT0_S4_PS2_S5_
                                        ; -- End function
	.set _Z14jaccard_is_optILb0EfEviiPKiS1_PKT0_S4_PS2_S5_.num_vgpr, 22
	.set _Z14jaccard_is_optILb0EfEviiPKiS1_PKT0_S4_PS2_S5_.num_agpr, 0
	.set _Z14jaccard_is_optILb0EfEviiPKiS1_PKT0_S4_PS2_S5_.numbered_sgpr, 32
	.set _Z14jaccard_is_optILb0EfEviiPKiS1_PKT0_S4_PS2_S5_.num_named_barrier, 0
	.set _Z14jaccard_is_optILb0EfEviiPKiS1_PKT0_S4_PS2_S5_.private_seg_size, 0
	.set _Z14jaccard_is_optILb0EfEviiPKiS1_PKT0_S4_PS2_S5_.uses_vcc, 1
	.set _Z14jaccard_is_optILb0EfEviiPKiS1_PKT0_S4_PS2_S5_.uses_flat_scratch, 0
	.set _Z14jaccard_is_optILb0EfEviiPKiS1_PKT0_S4_PS2_S5_.has_dyn_sized_stack, 0
	.set _Z14jaccard_is_optILb0EfEviiPKiS1_PKT0_S4_PS2_S5_.has_recursion, 0
	.set _Z14jaccard_is_optILb0EfEviiPKiS1_PKT0_S4_PS2_S5_.has_indirect_call, 0
	.section	.AMDGPU.csdata,"",@progbits
; Kernel info:
; codeLenInByte = 916
; TotalNumSgprs: 36
; NumVgprs: 22
; ScratchSize: 0
; MemoryBound: 0
; FloatMode: 240
; IeeeMode: 1
; LDSByteSize: 0 bytes/workgroup (compile time only)
; SGPRBlocks: 4
; VGPRBlocks: 5
; NumSGPRsForWavesPerEU: 36
; NumVGPRsForWavesPerEU: 22
; Occupancy: 10
; WaveLimiterHint : 1
; COMPUTE_PGM_RSRC2:SCRATCH_EN: 0
; COMPUTE_PGM_RSRC2:USER_SGPR: 6
; COMPUTE_PGM_RSRC2:TRAP_HANDLER: 0
; COMPUTE_PGM_RSRC2:TGID_X_EN: 1
; COMPUTE_PGM_RSRC2:TGID_Y_EN: 1
; COMPUTE_PGM_RSRC2:TGID_Z_EN: 1
; COMPUTE_PGM_RSRC2:TIDIG_COMP_CNT: 2
	.section	.text._Z10jaccard_jwILb0EfEviPKT0_S0_S2_S2_PS0_,"axG",@progbits,_Z10jaccard_jwILb0EfEviPKT0_S0_S2_S2_PS0_,comdat
	.protected	_Z10jaccard_jwILb0EfEviPKT0_S0_S2_S2_PS0_ ; -- Begin function _Z10jaccard_jwILb0EfEviPKT0_S0_S2_S2_PS0_
	.globl	_Z10jaccard_jwILb0EfEviPKT0_S0_S2_S2_PS0_
	.p2align	8
	.type	_Z10jaccard_jwILb0EfEviPKT0_S0_S2_S2_PS0_,@function
_Z10jaccard_jwILb0EfEviPKT0_S0_S2_S2_PS0_: ; @_Z10jaccard_jwILb0EfEviPKT0_S0_S2_S2_PS0_
; %bb.0:
	s_load_dword s2, s[4:5], 0x3c
	s_load_dword s12, s[4:5], 0x0
	s_add_u32 s0, s4, 48
	s_addc_u32 s1, s5, 0
	s_waitcnt lgkmcnt(0)
	s_and_b32 s14, s2, 0xffff
	s_mul_i32 s6, s6, s14
	v_add_u32_e32 v0, s6, v0
	v_cmp_gt_i32_e32 vcc, s12, v0
	s_and_saveexec_b64 s[2:3], vcc
	s_cbranch_execz .LBB7_3
; %bb.1:
	s_load_dword s15, s[0:1], 0x0
	s_load_dwordx4 s[8:11], s[4:5], 0x18
	s_load_dwordx2 s[2:3], s[4:5], 0x28
	s_load_dwordx2 s[6:7], s[4:5], 0x8
	s_load_dword s13, s[4:5], 0x10
	s_waitcnt lgkmcnt(0)
	s_mul_i32 s14, s15, s14
	s_mov_b64 s[4:5], 0
	v_mov_b32_e32 v2, s9
	v_mov_b32_e32 v3, s11
	;; [unrolled: 1-line block ×4, first 2 shown]
.LBB7_2:                                ; =>This Inner Loop Header: Depth=1
	v_ashrrev_i32_e32 v1, 31, v0
	v_lshlrev_b64 v[6:7], 2, v[0:1]
	v_add_u32_e32 v0, s14, v0
	v_add_co_u32_e32 v8, vcc, s8, v6
	v_addc_co_u32_e32 v9, vcc, v2, v7, vcc
	global_load_dword v1, v[8:9], off
	v_add_co_u32_e32 v8, vcc, s10, v6
	v_addc_co_u32_e32 v9, vcc, v3, v7, vcc
	global_load_dword v10, v[8:9], off
	;; [unrolled: 3-line block ×3, first 2 shown]
	s_waitcnt vmcnt(1)
	v_sub_f32_e32 v9, v10, v1
	v_div_scale_f32 v10, s[0:1], v9, v9, v1
	v_div_scale_f32 v11, vcc, v1, v9, v1
	v_add_co_u32_e64 v6, s[0:1], s2, v6
	s_waitcnt vmcnt(0)
	v_mul_f32_e32 v8, s13, v8
	v_addc_co_u32_e64 v7, s[0:1], v5, v7, s[0:1]
	v_rcp_f32_e32 v12, v10
	v_fma_f32 v13, -v10, v12, 1.0
	v_fmac_f32_e32 v12, v13, v12
	v_mul_f32_e32 v13, v11, v12
	v_fma_f32 v14, -v10, v13, v11
	v_fmac_f32_e32 v13, v14, v12
	v_fma_f32 v10, -v10, v13, v11
	v_div_fmas_f32 v10, v10, v12, v13
	v_cmp_le_i32_e32 vcc, s12, v0
	s_or_b64 s[4:5], vcc, s[4:5]
	v_div_fixup_f32 v1, v10, v9, v1
	v_mul_f32_e32 v1, v8, v1
	global_store_dword v[6:7], v1, off
	s_andn2_b64 exec, exec, s[4:5]
	s_cbranch_execnz .LBB7_2
.LBB7_3:
	s_endpgm
	.section	.rodata,"a",@progbits
	.p2align	6, 0x0
	.amdhsa_kernel _Z10jaccard_jwILb0EfEviPKT0_S0_S2_S2_PS0_
		.amdhsa_group_segment_fixed_size 0
		.amdhsa_private_segment_fixed_size 0
		.amdhsa_kernarg_size 304
		.amdhsa_user_sgpr_count 6
		.amdhsa_user_sgpr_private_segment_buffer 1
		.amdhsa_user_sgpr_dispatch_ptr 0
		.amdhsa_user_sgpr_queue_ptr 0
		.amdhsa_user_sgpr_kernarg_segment_ptr 1
		.amdhsa_user_sgpr_dispatch_id 0
		.amdhsa_user_sgpr_flat_scratch_init 0
		.amdhsa_user_sgpr_private_segment_size 0
		.amdhsa_uses_dynamic_stack 0
		.amdhsa_system_sgpr_private_segment_wavefront_offset 0
		.amdhsa_system_sgpr_workgroup_id_x 1
		.amdhsa_system_sgpr_workgroup_id_y 0
		.amdhsa_system_sgpr_workgroup_id_z 0
		.amdhsa_system_sgpr_workgroup_info 0
		.amdhsa_system_vgpr_workitem_id 0
		.amdhsa_next_free_vgpr 15
		.amdhsa_next_free_sgpr 16
		.amdhsa_reserve_vcc 1
		.amdhsa_reserve_flat_scratch 0
		.amdhsa_float_round_mode_32 0
		.amdhsa_float_round_mode_16_64 0
		.amdhsa_float_denorm_mode_32 3
		.amdhsa_float_denorm_mode_16_64 3
		.amdhsa_dx10_clamp 1
		.amdhsa_ieee_mode 1
		.amdhsa_fp16_overflow 0
		.amdhsa_exception_fp_ieee_invalid_op 0
		.amdhsa_exception_fp_denorm_src 0
		.amdhsa_exception_fp_ieee_div_zero 0
		.amdhsa_exception_fp_ieee_overflow 0
		.amdhsa_exception_fp_ieee_underflow 0
		.amdhsa_exception_fp_ieee_inexact 0
		.amdhsa_exception_int_div_zero 0
	.end_amdhsa_kernel
	.section	.text._Z10jaccard_jwILb0EfEviPKT0_S0_S2_S2_PS0_,"axG",@progbits,_Z10jaccard_jwILb0EfEviPKT0_S0_S2_S2_PS0_,comdat
.Lfunc_end7:
	.size	_Z10jaccard_jwILb0EfEviPKT0_S0_S2_S2_PS0_, .Lfunc_end7-_Z10jaccard_jwILb0EfEviPKT0_S0_S2_S2_PS0_
                                        ; -- End function
	.set _Z10jaccard_jwILb0EfEviPKT0_S0_S2_S2_PS0_.num_vgpr, 15
	.set _Z10jaccard_jwILb0EfEviPKT0_S0_S2_S2_PS0_.num_agpr, 0
	.set _Z10jaccard_jwILb0EfEviPKT0_S0_S2_S2_PS0_.numbered_sgpr, 16
	.set _Z10jaccard_jwILb0EfEviPKT0_S0_S2_S2_PS0_.num_named_barrier, 0
	.set _Z10jaccard_jwILb0EfEviPKT0_S0_S2_S2_PS0_.private_seg_size, 0
	.set _Z10jaccard_jwILb0EfEviPKT0_S0_S2_S2_PS0_.uses_vcc, 1
	.set _Z10jaccard_jwILb0EfEviPKT0_S0_S2_S2_PS0_.uses_flat_scratch, 0
	.set _Z10jaccard_jwILb0EfEviPKT0_S0_S2_S2_PS0_.has_dyn_sized_stack, 0
	.set _Z10jaccard_jwILb0EfEviPKT0_S0_S2_S2_PS0_.has_recursion, 0
	.set _Z10jaccard_jwILb0EfEviPKT0_S0_S2_S2_PS0_.has_indirect_call, 0
	.section	.AMDGPU.csdata,"",@progbits
; Kernel info:
; codeLenInByte = 324
; TotalNumSgprs: 20
; NumVgprs: 15
; ScratchSize: 0
; MemoryBound: 0
; FloatMode: 240
; IeeeMode: 1
; LDSByteSize: 0 bytes/workgroup (compile time only)
; SGPRBlocks: 2
; VGPRBlocks: 3
; NumSGPRsForWavesPerEU: 20
; NumVGPRsForWavesPerEU: 15
; Occupancy: 10
; WaveLimiterHint : 0
; COMPUTE_PGM_RSRC2:SCRATCH_EN: 0
; COMPUTE_PGM_RSRC2:USER_SGPR: 6
; COMPUTE_PGM_RSRC2:TRAP_HANDLER: 0
; COMPUTE_PGM_RSRC2:TGID_X_EN: 1
; COMPUTE_PGM_RSRC2:TGID_Y_EN: 0
; COMPUTE_PGM_RSRC2:TGID_Z_EN: 0
; COMPUTE_PGM_RSRC2:TIDIG_COMP_CNT: 0
	.section	.AMDGPU.gpr_maximums,"",@progbits
	.set amdgpu.max_num_vgpr, 0
	.set amdgpu.max_num_agpr, 0
	.set amdgpu.max_num_sgpr, 0
	.section	.AMDGPU.csdata,"",@progbits
	.type	__hip_cuid_71fd706ba77d5090,@object ; @__hip_cuid_71fd706ba77d5090
	.section	.bss,"aw",@nobits
	.globl	__hip_cuid_71fd706ba77d5090
__hip_cuid_71fd706ba77d5090:
	.byte	0                               ; 0x0
	.size	__hip_cuid_71fd706ba77d5090, 1

	.ident	"AMD clang version 22.0.0git (https://github.com/RadeonOpenCompute/llvm-project roc-7.2.4 26084 f58b06dce1f9c15707c5f808fd002e18c2accf7e)"
	.section	".note.GNU-stack","",@progbits
	.addrsig
	.addrsig_sym __hip_cuid_71fd706ba77d5090
	.amdgpu_metadata
---
amdhsa.kernels:
  - .args:
      - .offset:         0
        .size:           4
        .value_kind:     by_value
      - .address_space:  global
        .offset:         8
        .size:           8
        .value_kind:     global_buffer
      - .offset:         16
        .size:           4
        .value_kind:     by_value
      - .offset:         24
        .size:           4
        .value_kind:     hidden_block_count_x
      - .offset:         28
        .size:           4
        .value_kind:     hidden_block_count_y
      - .offset:         32
        .size:           4
        .value_kind:     hidden_block_count_z
      - .offset:         36
        .size:           2
        .value_kind:     hidden_group_size_x
      - .offset:         38
        .size:           2
        .value_kind:     hidden_group_size_y
      - .offset:         40
        .size:           2
        .value_kind:     hidden_group_size_z
      - .offset:         42
        .size:           2
        .value_kind:     hidden_remainder_x
      - .offset:         44
        .size:           2
        .value_kind:     hidden_remainder_y
      - .offset:         46
        .size:           2
        .value_kind:     hidden_remainder_z
      - .offset:         64
        .size:           8
        .value_kind:     hidden_global_offset_x
      - .offset:         72
        .size:           8
        .value_kind:     hidden_global_offset_y
      - .offset:         80
        .size:           8
        .value_kind:     hidden_global_offset_z
      - .offset:         88
        .size:           2
        .value_kind:     hidden_grid_dims
    .group_segment_fixed_size: 0
    .kernarg_segment_align: 8
    .kernarg_segment_size: 280
    .language:       OpenCL C
    .language_version:
      - 2
      - 0
    .max_flat_workgroup_size: 1024
    .name:           _Z4fillILb1EfEviPT0_S0_
    .private_segment_fixed_size: 0
    .sgpr_count:     13
    .sgpr_spill_count: 0
    .symbol:         _Z4fillILb1EfEviPT0_S0_.kd
    .uniform_work_group_size: 1
    .uses_dynamic_stack: false
    .vgpr_count:     9
    .vgpr_spill_count: 0
    .wavefront_size: 64
  - .args:
      - .offset:         0
        .size:           4
        .value_kind:     by_value
      - .address_space:  global
        .offset:         8
        .size:           8
        .value_kind:     global_buffer
      - .offset:         16
        .size:           4
        .value_kind:     by_value
      - .offset:         24
        .size:           4
        .value_kind:     hidden_block_count_x
      - .offset:         28
        .size:           4
        .value_kind:     hidden_block_count_y
      - .offset:         32
        .size:           4
        .value_kind:     hidden_block_count_z
      - .offset:         36
        .size:           2
        .value_kind:     hidden_group_size_x
      - .offset:         38
        .size:           2
        .value_kind:     hidden_group_size_y
      - .offset:         40
        .size:           2
        .value_kind:     hidden_group_size_z
      - .offset:         42
        .size:           2
        .value_kind:     hidden_remainder_x
      - .offset:         44
        .size:           2
        .value_kind:     hidden_remainder_y
      - .offset:         46
        .size:           2
        .value_kind:     hidden_remainder_z
      - .offset:         64
        .size:           8
        .value_kind:     hidden_global_offset_x
      - .offset:         72
        .size:           8
        .value_kind:     hidden_global_offset_y
      - .offset:         80
        .size:           8
        .value_kind:     hidden_global_offset_z
      - .offset:         88
        .size:           2
        .value_kind:     hidden_grid_dims
    .group_segment_fixed_size: 0
    .kernarg_segment_align: 8
    .kernarg_segment_size: 280
    .language:       OpenCL C
    .language_version:
      - 2
      - 0
    .max_flat_workgroup_size: 1024
    .name:           _Z4fillILb0EfEviPT0_S0_
    .private_segment_fixed_size: 0
    .sgpr_count:     14
    .sgpr_spill_count: 0
    .symbol:         _Z4fillILb0EfEviPT0_S0_.kd
    .uniform_work_group_size: 1
    .uses_dynamic_stack: false
    .vgpr_count:     6
    .vgpr_spill_count: 0
    .wavefront_size: 64
  - .args:
      - .offset:         0
        .size:           4
        .value_kind:     by_value
      - .actual_access:  read_only
        .address_space:  global
        .offset:         8
        .size:           8
        .value_kind:     global_buffer
      - .actual_access:  read_only
        .address_space:  global
        .offset:         16
        .size:           8
        .value_kind:     global_buffer
      - .actual_access:  read_only
        .address_space:  global
        .offset:         24
        .size:           8
        .value_kind:     global_buffer
      - .actual_access:  write_only
        .address_space:  global
        .offset:         32
        .size:           8
        .value_kind:     global_buffer
      - .offset:         40
        .size:           4
        .value_kind:     hidden_block_count_x
      - .offset:         44
        .size:           4
        .value_kind:     hidden_block_count_y
      - .offset:         48
        .size:           4
        .value_kind:     hidden_block_count_z
      - .offset:         52
        .size:           2
        .value_kind:     hidden_group_size_x
      - .offset:         54
        .size:           2
        .value_kind:     hidden_group_size_y
      - .offset:         56
        .size:           2
        .value_kind:     hidden_group_size_z
      - .offset:         58
        .size:           2
        .value_kind:     hidden_remainder_x
      - .offset:         60
        .size:           2
        .value_kind:     hidden_remainder_y
      - .offset:         62
        .size:           2
        .value_kind:     hidden_remainder_z
      - .offset:         80
        .size:           8
        .value_kind:     hidden_global_offset_x
      - .offset:         88
        .size:           8
        .value_kind:     hidden_global_offset_y
      - .offset:         96
        .size:           8
        .value_kind:     hidden_global_offset_z
      - .offset:         104
        .size:           2
        .value_kind:     hidden_grid_dims
    .group_segment_fixed_size: 0
    .kernarg_segment_align: 8
    .kernarg_segment_size: 296
    .language:       OpenCL C
    .language_version:
      - 2
      - 0
    .max_flat_workgroup_size: 1024
    .name:           _Z15jaccard_row_sumILb1EfEviPKiS1_PKT0_PS2_
    .private_segment_fixed_size: 0
    .sgpr_count:     28
    .sgpr_spill_count: 0
    .symbol:         _Z15jaccard_row_sumILb1EfEviPKiS1_PKT0_PS2_.kd
    .uniform_work_group_size: 1
    .uses_dynamic_stack: false
    .vgpr_count:     18
    .vgpr_spill_count: 0
    .wavefront_size: 64
  - .args:
      - .offset:         0
        .size:           4
        .value_kind:     by_value
      - .offset:         4
        .size:           4
        .value_kind:     by_value
      - .actual_access:  read_only
        .address_space:  global
        .offset:         8
        .size:           8
        .value_kind:     global_buffer
      - .actual_access:  read_only
        .address_space:  global
        .offset:         16
        .size:           8
        .value_kind:     global_buffer
      - .actual_access:  read_only
        .address_space:  global
        .offset:         24
        .size:           8
        .value_kind:     global_buffer
      - .actual_access:  read_only
        .address_space:  global
        .offset:         32
        .size:           8
        .value_kind:     global_buffer
      - .address_space:  global
        .offset:         40
        .size:           8
        .value_kind:     global_buffer
      - .actual_access:  write_only
        .address_space:  global
        .offset:         48
        .size:           8
        .value_kind:     global_buffer
      - .offset:         56
        .size:           4
        .value_kind:     hidden_block_count_x
      - .offset:         60
        .size:           4
        .value_kind:     hidden_block_count_y
      - .offset:         64
        .size:           4
        .value_kind:     hidden_block_count_z
      - .offset:         68
        .size:           2
        .value_kind:     hidden_group_size_x
      - .offset:         70
        .size:           2
        .value_kind:     hidden_group_size_y
      - .offset:         72
        .size:           2
        .value_kind:     hidden_group_size_z
      - .offset:         74
        .size:           2
        .value_kind:     hidden_remainder_x
      - .offset:         76
        .size:           2
        .value_kind:     hidden_remainder_y
      - .offset:         78
        .size:           2
        .value_kind:     hidden_remainder_z
      - .offset:         96
        .size:           8
        .value_kind:     hidden_global_offset_x
      - .offset:         104
        .size:           8
        .value_kind:     hidden_global_offset_y
      - .offset:         112
        .size:           8
        .value_kind:     hidden_global_offset_z
      - .offset:         120
        .size:           2
        .value_kind:     hidden_grid_dims
    .group_segment_fixed_size: 0
    .kernarg_segment_align: 8
    .kernarg_segment_size: 312
    .language:       OpenCL C
    .language_version:
      - 2
      - 0
    .max_flat_workgroup_size: 1024
    .name:           _Z14jaccard_is_optILb1EfEviiPKiS1_PKT0_S4_PS2_S5_
    .private_segment_fixed_size: 0
    .sgpr_count:     40
    .sgpr_spill_count: 0
    .symbol:         _Z14jaccard_is_optILb1EfEviiPKiS1_PKT0_S4_PS2_S5_.kd
    .uniform_work_group_size: 1
    .uses_dynamic_stack: false
    .vgpr_count:     23
    .vgpr_spill_count: 0
    .wavefront_size: 64
  - .args:
      - .offset:         0
        .size:           4
        .value_kind:     by_value
      - .actual_access:  read_only
        .address_space:  global
        .offset:         8
        .size:           8
        .value_kind:     global_buffer
      - .offset:         16
        .size:           4
        .value_kind:     by_value
      - .actual_access:  read_only
        .address_space:  global
        .offset:         24
        .size:           8
        .value_kind:     global_buffer
      - .actual_access:  read_only
        .address_space:  global
        .offset:         32
        .size:           8
        .value_kind:     global_buffer
      - .actual_access:  write_only
        .address_space:  global
        .offset:         40
        .size:           8
        .value_kind:     global_buffer
      - .offset:         48
        .size:           4
        .value_kind:     hidden_block_count_x
      - .offset:         52
        .size:           4
        .value_kind:     hidden_block_count_y
      - .offset:         56
        .size:           4
        .value_kind:     hidden_block_count_z
      - .offset:         60
        .size:           2
        .value_kind:     hidden_group_size_x
      - .offset:         62
        .size:           2
        .value_kind:     hidden_group_size_y
      - .offset:         64
        .size:           2
        .value_kind:     hidden_group_size_z
      - .offset:         66
        .size:           2
        .value_kind:     hidden_remainder_x
      - .offset:         68
        .size:           2
        .value_kind:     hidden_remainder_y
      - .offset:         70
        .size:           2
        .value_kind:     hidden_remainder_z
      - .offset:         88
        .size:           8
        .value_kind:     hidden_global_offset_x
      - .offset:         96
        .size:           8
        .value_kind:     hidden_global_offset_y
      - .offset:         104
        .size:           8
        .value_kind:     hidden_global_offset_z
      - .offset:         112
        .size:           2
        .value_kind:     hidden_grid_dims
    .group_segment_fixed_size: 0
    .kernarg_segment_align: 8
    .kernarg_segment_size: 304
    .language:       OpenCL C
    .language_version:
      - 2
      - 0
    .max_flat_workgroup_size: 1024
    .name:           _Z10jaccard_jwILb1EfEviPKT0_S0_S2_S2_PS0_
    .private_segment_fixed_size: 0
    .sgpr_count:     20
    .sgpr_spill_count: 0
    .symbol:         _Z10jaccard_jwILb1EfEviPKT0_S0_S2_S2_PS0_.kd
    .uniform_work_group_size: 1
    .uses_dynamic_stack: false
    .vgpr_count:     15
    .vgpr_spill_count: 0
    .wavefront_size: 64
  - .args:
      - .offset:         0
        .size:           4
        .value_kind:     by_value
      - .actual_access:  read_only
        .address_space:  global
        .offset:         8
        .size:           8
        .value_kind:     global_buffer
      - .actual_access:  read_only
        .address_space:  global
        .offset:         16
        .size:           8
        .value_kind:     global_buffer
      - .actual_access:  read_only
        .address_space:  global
        .offset:         24
        .size:           8
        .value_kind:     global_buffer
      - .actual_access:  write_only
        .address_space:  global
        .offset:         32
        .size:           8
        .value_kind:     global_buffer
      - .offset:         40
        .size:           4
        .value_kind:     hidden_block_count_x
      - .offset:         44
        .size:           4
        .value_kind:     hidden_block_count_y
      - .offset:         48
        .size:           4
        .value_kind:     hidden_block_count_z
      - .offset:         52
        .size:           2
        .value_kind:     hidden_group_size_x
      - .offset:         54
        .size:           2
        .value_kind:     hidden_group_size_y
      - .offset:         56
        .size:           2
        .value_kind:     hidden_group_size_z
      - .offset:         58
        .size:           2
        .value_kind:     hidden_remainder_x
      - .offset:         60
        .size:           2
        .value_kind:     hidden_remainder_y
      - .offset:         62
        .size:           2
        .value_kind:     hidden_remainder_z
      - .offset:         80
        .size:           8
        .value_kind:     hidden_global_offset_x
      - .offset:         88
        .size:           8
        .value_kind:     hidden_global_offset_y
      - .offset:         96
        .size:           8
        .value_kind:     hidden_global_offset_z
      - .offset:         104
        .size:           2
        .value_kind:     hidden_grid_dims
    .group_segment_fixed_size: 0
    .kernarg_segment_align: 8
    .kernarg_segment_size: 296
    .language:       OpenCL C
    .language_version:
      - 2
      - 0
    .max_flat_workgroup_size: 1024
    .name:           _Z15jaccard_row_sumILb0EfEviPKiS1_PKT0_PS2_
    .private_segment_fixed_size: 0
    .sgpr_count:     15
    .sgpr_spill_count: 0
    .symbol:         _Z15jaccard_row_sumILb0EfEviPKiS1_PKT0_PS2_.kd
    .uniform_work_group_size: 1
    .uses_dynamic_stack: false
    .vgpr_count:     8
    .vgpr_spill_count: 0
    .wavefront_size: 64
  - .args:
      - .offset:         0
        .size:           4
        .value_kind:     by_value
      - .offset:         4
        .size:           4
        .value_kind:     by_value
      - .actual_access:  read_only
        .address_space:  global
        .offset:         8
        .size:           8
        .value_kind:     global_buffer
      - .actual_access:  read_only
        .address_space:  global
        .offset:         16
        .size:           8
        .value_kind:     global_buffer
      - .actual_access:  read_only
        .address_space:  global
        .offset:         24
        .size:           8
        .value_kind:     global_buffer
      - .actual_access:  read_only
        .address_space:  global
        .offset:         32
        .size:           8
        .value_kind:     global_buffer
      - .address_space:  global
        .offset:         40
        .size:           8
        .value_kind:     global_buffer
      - .actual_access:  write_only
        .address_space:  global
        .offset:         48
        .size:           8
        .value_kind:     global_buffer
      - .offset:         56
        .size:           4
        .value_kind:     hidden_block_count_x
      - .offset:         60
        .size:           4
        .value_kind:     hidden_block_count_y
      - .offset:         64
        .size:           4
        .value_kind:     hidden_block_count_z
      - .offset:         68
        .size:           2
        .value_kind:     hidden_group_size_x
      - .offset:         70
        .size:           2
        .value_kind:     hidden_group_size_y
      - .offset:         72
        .size:           2
        .value_kind:     hidden_group_size_z
      - .offset:         74
        .size:           2
        .value_kind:     hidden_remainder_x
      - .offset:         76
        .size:           2
        .value_kind:     hidden_remainder_y
      - .offset:         78
        .size:           2
        .value_kind:     hidden_remainder_z
      - .offset:         96
        .size:           8
        .value_kind:     hidden_global_offset_x
      - .offset:         104
        .size:           8
        .value_kind:     hidden_global_offset_y
      - .offset:         112
        .size:           8
        .value_kind:     hidden_global_offset_z
      - .offset:         120
        .size:           2
        .value_kind:     hidden_grid_dims
    .group_segment_fixed_size: 0
    .kernarg_segment_align: 8
    .kernarg_segment_size: 312
    .language:       OpenCL C
    .language_version:
      - 2
      - 0
    .max_flat_workgroup_size: 1024
    .name:           _Z14jaccard_is_optILb0EfEviiPKiS1_PKT0_S4_PS2_S5_
    .private_segment_fixed_size: 0
    .sgpr_count:     36
    .sgpr_spill_count: 0
    .symbol:         _Z14jaccard_is_optILb0EfEviiPKiS1_PKT0_S4_PS2_S5_.kd
    .uniform_work_group_size: 1
    .uses_dynamic_stack: false
    .vgpr_count:     22
    .vgpr_spill_count: 0
    .wavefront_size: 64
  - .args:
      - .offset:         0
        .size:           4
        .value_kind:     by_value
      - .actual_access:  read_only
        .address_space:  global
        .offset:         8
        .size:           8
        .value_kind:     global_buffer
      - .offset:         16
        .size:           4
        .value_kind:     by_value
      - .actual_access:  read_only
        .address_space:  global
        .offset:         24
        .size:           8
        .value_kind:     global_buffer
      - .actual_access:  read_only
        .address_space:  global
        .offset:         32
        .size:           8
        .value_kind:     global_buffer
      - .actual_access:  write_only
        .address_space:  global
        .offset:         40
        .size:           8
        .value_kind:     global_buffer
      - .offset:         48
        .size:           4
        .value_kind:     hidden_block_count_x
      - .offset:         52
        .size:           4
        .value_kind:     hidden_block_count_y
      - .offset:         56
        .size:           4
        .value_kind:     hidden_block_count_z
      - .offset:         60
        .size:           2
        .value_kind:     hidden_group_size_x
      - .offset:         62
        .size:           2
        .value_kind:     hidden_group_size_y
      - .offset:         64
        .size:           2
        .value_kind:     hidden_group_size_z
      - .offset:         66
        .size:           2
        .value_kind:     hidden_remainder_x
      - .offset:         68
        .size:           2
        .value_kind:     hidden_remainder_y
      - .offset:         70
        .size:           2
        .value_kind:     hidden_remainder_z
      - .offset:         88
        .size:           8
        .value_kind:     hidden_global_offset_x
      - .offset:         96
        .size:           8
        .value_kind:     hidden_global_offset_y
      - .offset:         104
        .size:           8
        .value_kind:     hidden_global_offset_z
      - .offset:         112
        .size:           2
        .value_kind:     hidden_grid_dims
    .group_segment_fixed_size: 0
    .kernarg_segment_align: 8
    .kernarg_segment_size: 304
    .language:       OpenCL C
    .language_version:
      - 2
      - 0
    .max_flat_workgroup_size: 1024
    .name:           _Z10jaccard_jwILb0EfEviPKT0_S0_S2_S2_PS0_
    .private_segment_fixed_size: 0
    .sgpr_count:     20
    .sgpr_spill_count: 0
    .symbol:         _Z10jaccard_jwILb0EfEviPKT0_S0_S2_S2_PS0_.kd
    .uniform_work_group_size: 1
    .uses_dynamic_stack: false
    .vgpr_count:     15
    .vgpr_spill_count: 0
    .wavefront_size: 64
amdhsa.target:   amdgcn-amd-amdhsa--gfx906
amdhsa.version:
  - 1
  - 2
...

	.end_amdgpu_metadata
